;; amdgpu-corpus repo=ROCm/rocFFT kind=compiled arch=gfx950 opt=O3
	.text
	.amdgcn_target "amdgcn-amd-amdhsa--gfx950"
	.amdhsa_code_object_version 6
	.protected	fft_rtc_back_len1666_factors_17_2_7_7_wgs_119_tpt_119_halfLds_dp_ip_CI_unitstride_sbrr_dirReg ; -- Begin function fft_rtc_back_len1666_factors_17_2_7_7_wgs_119_tpt_119_halfLds_dp_ip_CI_unitstride_sbrr_dirReg
	.globl	fft_rtc_back_len1666_factors_17_2_7_7_wgs_119_tpt_119_halfLds_dp_ip_CI_unitstride_sbrr_dirReg
	.p2align	8
	.type	fft_rtc_back_len1666_factors_17_2_7_7_wgs_119_tpt_119_halfLds_dp_ip_CI_unitstride_sbrr_dirReg,@function
fft_rtc_back_len1666_factors_17_2_7_7_wgs_119_tpt_119_halfLds_dp_ip_CI_unitstride_sbrr_dirReg: ; @fft_rtc_back_len1666_factors_17_2_7_7_wgs_119_tpt_119_halfLds_dp_ip_CI_unitstride_sbrr_dirReg
; %bb.0:
	s_load_dwordx2 s[8:9], s[0:1], 0x50
	s_load_dwordx4 s[4:7], s[0:1], 0x0
	s_load_dwordx2 s[10:11], s[0:1], 0x18
	v_mul_u32_u24_e32 v1, 0x227, v0
	v_add_u32_sdwa v6, s2, v1 dst_sel:DWORD dst_unused:UNUSED_PAD src0_sel:DWORD src1_sel:WORD_1
	v_mov_b32_e32 v4, 0
	s_waitcnt lgkmcnt(0)
	v_cmp_lt_u64_e64 s[2:3], s[6:7], 2
	v_mov_b32_e32 v7, v4
	s_and_b64 vcc, exec, s[2:3]
	v_mov_b64_e32 v[2:3], 0
	s_cbranch_vccnz .LBB0_8
; %bb.1:
	s_load_dwordx2 s[2:3], s[0:1], 0x10
	s_add_u32 s12, s10, 8
	s_addc_u32 s13, s11, 0
	s_mov_b64 s[14:15], 1
	v_mov_b64_e32 v[2:3], 0
	s_waitcnt lgkmcnt(0)
	s_add_u32 s16, s2, 8
	s_addc_u32 s17, s3, 0
.LBB0_2:                                ; =>This Inner Loop Header: Depth=1
	s_load_dwordx2 s[18:19], s[16:17], 0x0
                                        ; implicit-def: $vgpr8_vgpr9
	s_waitcnt lgkmcnt(0)
	v_or_b32_e32 v5, s19, v7
	v_cmp_ne_u64_e32 vcc, 0, v[4:5]
	s_and_saveexec_b64 s[2:3], vcc
	s_xor_b64 s[20:21], exec, s[2:3]
	s_cbranch_execz .LBB0_4
; %bb.3:                                ;   in Loop: Header=BB0_2 Depth=1
	v_cvt_f32_u32_e32 v1, s18
	v_cvt_f32_u32_e32 v5, s19
	s_sub_u32 s2, 0, s18
	s_subb_u32 s3, 0, s19
	v_fmac_f32_e32 v1, 0x4f800000, v5
	v_rcp_f32_e32 v1, v1
	s_nop 0
	v_mul_f32_e32 v1, 0x5f7ffffc, v1
	v_mul_f32_e32 v5, 0x2f800000, v1
	v_trunc_f32_e32 v5, v5
	v_fmac_f32_e32 v1, 0xcf800000, v5
	v_cvt_u32_f32_e32 v5, v5
	v_cvt_u32_f32_e32 v1, v1
	v_mul_lo_u32 v8, s2, v5
	v_mul_hi_u32 v10, s2, v1
	v_mul_lo_u32 v9, s3, v1
	v_add_u32_e32 v10, v10, v8
	v_mul_lo_u32 v12, s2, v1
	v_add_u32_e32 v13, v10, v9
	v_mul_hi_u32 v8, v1, v12
	v_mul_hi_u32 v11, v1, v13
	v_mul_lo_u32 v10, v1, v13
	v_mov_b32_e32 v9, v4
	v_lshl_add_u64 v[8:9], v[8:9], 0, v[10:11]
	v_mul_hi_u32 v11, v5, v12
	v_mul_lo_u32 v12, v5, v12
	v_add_co_u32_e32 v8, vcc, v8, v12
	v_mul_hi_u32 v10, v5, v13
	s_nop 0
	v_addc_co_u32_e32 v8, vcc, v9, v11, vcc
	v_mov_b32_e32 v9, v4
	s_nop 0
	v_addc_co_u32_e32 v11, vcc, 0, v10, vcc
	v_mul_lo_u32 v10, v5, v13
	v_lshl_add_u64 v[8:9], v[8:9], 0, v[10:11]
	v_add_co_u32_e32 v1, vcc, v1, v8
	v_mul_lo_u32 v10, s2, v1
	s_nop 0
	v_addc_co_u32_e32 v5, vcc, v5, v9, vcc
	v_mul_lo_u32 v8, s2, v5
	v_mul_hi_u32 v9, s2, v1
	v_add_u32_e32 v8, v9, v8
	v_mul_lo_u32 v9, s3, v1
	v_add_u32_e32 v12, v8, v9
	v_mul_hi_u32 v14, v5, v10
	v_mul_lo_u32 v15, v5, v10
	v_mul_hi_u32 v9, v1, v12
	v_mul_lo_u32 v8, v1, v12
	v_mul_hi_u32 v10, v1, v10
	v_mov_b32_e32 v11, v4
	v_lshl_add_u64 v[8:9], v[10:11], 0, v[8:9]
	v_add_co_u32_e32 v8, vcc, v8, v15
	v_mul_hi_u32 v13, v5, v12
	s_nop 0
	v_addc_co_u32_e32 v8, vcc, v9, v14, vcc
	v_mul_lo_u32 v10, v5, v12
	s_nop 0
	v_addc_co_u32_e32 v11, vcc, 0, v13, vcc
	v_mov_b32_e32 v9, v4
	v_lshl_add_u64 v[8:9], v[8:9], 0, v[10:11]
	v_add_co_u32_e32 v1, vcc, v1, v8
	v_mul_hi_u32 v10, v6, v1
	s_nop 0
	v_addc_co_u32_e32 v5, vcc, v5, v9, vcc
	v_mad_u64_u32 v[8:9], s[2:3], v6, v5, 0
	v_mov_b32_e32 v11, v4
	v_lshl_add_u64 v[8:9], v[10:11], 0, v[8:9]
	v_mad_u64_u32 v[12:13], s[2:3], v7, v1, 0
	v_add_co_u32_e32 v1, vcc, v8, v12
	v_mad_u64_u32 v[10:11], s[2:3], v7, v5, 0
	s_nop 0
	v_addc_co_u32_e32 v8, vcc, v9, v13, vcc
	v_mov_b32_e32 v9, v4
	s_nop 0
	v_addc_co_u32_e32 v11, vcc, 0, v11, vcc
	v_lshl_add_u64 v[8:9], v[8:9], 0, v[10:11]
	v_mul_lo_u32 v1, s19, v8
	v_mul_lo_u32 v5, s18, v9
	v_mad_u64_u32 v[10:11], s[2:3], s18, v8, 0
	v_add3_u32 v1, v11, v5, v1
	v_sub_u32_e32 v5, v7, v1
	v_mov_b32_e32 v11, s19
	v_sub_co_u32_e32 v14, vcc, v6, v10
	v_lshl_add_u64 v[12:13], v[8:9], 0, 1
	s_nop 0
	v_subb_co_u32_e64 v5, s[2:3], v5, v11, vcc
	v_subrev_co_u32_e64 v10, s[2:3], s18, v14
	v_subb_co_u32_e32 v1, vcc, v7, v1, vcc
	s_nop 0
	v_subbrev_co_u32_e64 v5, s[2:3], 0, v5, s[2:3]
	v_cmp_le_u32_e64 s[2:3], s19, v5
	v_cmp_le_u32_e32 vcc, s19, v1
	s_nop 0
	v_cndmask_b32_e64 v11, 0, -1, s[2:3]
	v_cmp_le_u32_e64 s[2:3], s18, v10
	s_nop 1
	v_cndmask_b32_e64 v10, 0, -1, s[2:3]
	v_cmp_eq_u32_e64 s[2:3], s19, v5
	s_nop 1
	v_cndmask_b32_e64 v5, v11, v10, s[2:3]
	v_lshl_add_u64 v[10:11], v[8:9], 0, 2
	v_cmp_ne_u32_e64 s[2:3], 0, v5
	s_nop 1
	v_cndmask_b32_e64 v5, v13, v11, s[2:3]
	v_cndmask_b32_e64 v11, 0, -1, vcc
	v_cmp_le_u32_e32 vcc, s18, v14
	s_nop 1
	v_cndmask_b32_e64 v13, 0, -1, vcc
	v_cmp_eq_u32_e32 vcc, s19, v1
	s_nop 1
	v_cndmask_b32_e32 v1, v11, v13, vcc
	v_cmp_ne_u32_e32 vcc, 0, v1
	v_cndmask_b32_e64 v1, v12, v10, s[2:3]
	s_nop 0
	v_cndmask_b32_e32 v9, v9, v5, vcc
	v_cndmask_b32_e32 v8, v8, v1, vcc
.LBB0_4:                                ;   in Loop: Header=BB0_2 Depth=1
	s_andn2_saveexec_b64 s[2:3], s[20:21]
	s_cbranch_execz .LBB0_6
; %bb.5:                                ;   in Loop: Header=BB0_2 Depth=1
	v_cvt_f32_u32_e32 v1, s18
	s_sub_i32 s20, 0, s18
	v_rcp_iflag_f32_e32 v1, v1
	s_nop 0
	v_mul_f32_e32 v1, 0x4f7ffffe, v1
	v_cvt_u32_f32_e32 v1, v1
	v_mul_lo_u32 v5, s20, v1
	v_mul_hi_u32 v5, v1, v5
	v_add_u32_e32 v1, v1, v5
	v_mul_hi_u32 v1, v6, v1
	v_mul_lo_u32 v5, v1, s18
	v_sub_u32_e32 v5, v6, v5
	v_add_u32_e32 v8, 1, v1
	v_subrev_u32_e32 v9, s18, v5
	v_cmp_le_u32_e32 vcc, s18, v5
	s_nop 1
	v_cndmask_b32_e32 v5, v5, v9, vcc
	v_cndmask_b32_e32 v1, v1, v8, vcc
	v_add_u32_e32 v8, 1, v1
	v_cmp_le_u32_e32 vcc, s18, v5
	v_mov_b32_e32 v9, v4
	s_nop 0
	v_cndmask_b32_e32 v8, v1, v8, vcc
.LBB0_6:                                ;   in Loop: Header=BB0_2 Depth=1
	s_or_b64 exec, exec, s[2:3]
	v_mad_u64_u32 v[10:11], s[2:3], v8, s18, 0
	s_load_dwordx2 s[2:3], s[12:13], 0x0
	v_mul_lo_u32 v1, v9, s18
	v_mul_lo_u32 v5, v8, s19
	v_add3_u32 v1, v11, v5, v1
	v_sub_co_u32_e32 v5, vcc, v6, v10
	s_add_u32 s14, s14, 1
	s_nop 0
	v_subb_co_u32_e32 v1, vcc, v7, v1, vcc
	s_addc_u32 s15, s15, 0
	s_waitcnt lgkmcnt(0)
	v_mul_lo_u32 v1, s2, v1
	v_mul_lo_u32 v6, s3, v5
	v_mad_u64_u32 v[2:3], s[2:3], s2, v5, v[2:3]
	s_add_u32 s12, s12, 8
	v_add3_u32 v3, v6, v3, v1
	s_addc_u32 s13, s13, 0
	v_mov_b64_e32 v[6:7], s[6:7]
	s_add_u32 s16, s16, 8
	v_cmp_ge_u64_e32 vcc, s[14:15], v[6:7]
	s_addc_u32 s17, s17, 0
	s_cbranch_vccnz .LBB0_9
; %bb.7:                                ;   in Loop: Header=BB0_2 Depth=1
	v_mov_b64_e32 v[6:7], v[8:9]
	s_branch .LBB0_2
.LBB0_8:
	v_mov_b64_e32 v[8:9], v[6:7]
.LBB0_9:
	s_lshl_b64 s[2:3], s[6:7], 3
	s_add_u32 s2, s10, s2
	s_addc_u32 s3, s11, s3
	s_load_dwordx2 s[6:7], s[2:3], 0x0
	s_load_dwordx2 s[10:11], s[0:1], 0x20
	s_mov_b32 s2, 0x226b903
                                        ; implicit-def: $vgpr66_vgpr67
                                        ; implicit-def: $vgpr62_vgpr63
                                        ; implicit-def: $vgpr54_vgpr55
                                        ; implicit-def: $vgpr50_vgpr51
                                        ; implicit-def: $vgpr42_vgpr43
                                        ; implicit-def: $vgpr26_vgpr27
                                        ; implicit-def: $vgpr18_vgpr19
                                        ; implicit-def: $vgpr6_vgpr7
                                        ; implicit-def: $vgpr10_vgpr11
                                        ; implicit-def: $vgpr14_vgpr15
                                        ; implicit-def: $vgpr22_vgpr23
                                        ; implicit-def: $vgpr30_vgpr31
                                        ; implicit-def: $vgpr34_vgpr35
                                        ; implicit-def: $vgpr46_vgpr47
                                        ; implicit-def: $vgpr58_vgpr59
                                        ; implicit-def: $vgpr38_vgpr39
	s_waitcnt lgkmcnt(0)
	v_mul_lo_u32 v1, s6, v9
	v_mul_lo_u32 v4, s7, v8
	v_mad_u64_u32 v[2:3], s[0:1], s6, v8, v[2:3]
	v_add3_u32 v3, v4, v3, v1
	v_mul_hi_u32 v1, v0, s2
	v_mul_u32_u24_e32 v1, 0x77, v1
	v_sub_u32_e32 v88, v0, v1
	s_movk_i32 s2, 0x62
	v_cmp_gt_u64_e64 s[0:1], s[10:11], v[8:9]
	v_cmp_gt_u32_e64 s[2:3], s2, v88
	s_and_b64 s[10:11], s[0:1], s[2:3]
	v_lshl_add_u64 v[90:91], v[2:3], 4, s[8:9]
                                        ; implicit-def: $vgpr2_vgpr3
	s_and_saveexec_b64 s[6:7], s[10:11]
	s_cbranch_execz .LBB0_11
; %bb.10:
	v_mov_b32_e32 v89, 0
	v_lshl_add_u64 v[40:41], v[88:89], 4, v[90:91]
	s_movk_i32 s8, 0x1000
	v_add_co_u32_e32 v0, vcc, s8, v40
	s_movk_i32 s8, 0x2000
	s_nop 0
	v_addc_co_u32_e32 v1, vcc, 0, v41, vcc
	global_load_dwordx4 v[36:39], v[40:41], off
	global_load_dwordx4 v[56:59], v[40:41], off offset:1568
	global_load_dwordx4 v[44:47], v[40:41], off offset:3136
	;; [unrolled: 1-line block ×5, first 2 shown]
	v_add_co_u32_e32 v0, vcc, s8, v40
	s_movk_i32 s8, 0x3000
	s_nop 0
	v_addc_co_u32_e32 v1, vcc, 0, v41, vcc
	v_add_co_u32_e32 v42, vcc, s8, v40
	s_movk_i32 s8, 0x4000
	s_nop 0
	v_addc_co_u32_e32 v43, vcc, 0, v41, vcc
	;; [unrolled: 4-line block ×3, first 2 shown]
	v_add_co_u32_e32 v70, vcc, s8, v40
	global_load_dwordx4 v[12:15], v[0:1], off offset:1216
	global_load_dwordx4 v[8:11], v[0:1], off offset:2784
	v_addc_co_u32_e32 v71, vcc, 0, v41, vcc
	v_add_co_u32_e32 v72, vcc, 0x6000, v40
	global_load_dwordx4 v[0:3], v[42:43], off offset:256
	global_load_dwordx4 v[4:7], v[42:43], off offset:1824
	;; [unrolled: 1-line block ×4, first 2 shown]
	v_addc_co_u32_e32 v73, vcc, 0, v41, vcc
	global_load_dwordx4 v[40:43], v[68:69], off offset:2432
	global_load_dwordx4 v[48:51], v[68:69], off offset:4000
	;; [unrolled: 1-line block ×5, first 2 shown]
.LBB0_11:
	s_or_b64 exec, exec, s[6:7]
	s_and_saveexec_b64 s[6:7], s[2:3]
	s_cbranch_execz .LBB0_13
; %bb.12:
	s_mov_b32 s30, 0x7faef3
	s_mov_b32 s36, 0x370991
	s_waitcnt vmcnt(0)
	v_add_f64 v[120:121], v[64:65], v[56:57]
	s_mov_b32 s31, 0xbfef7484
	s_mov_b32 s34, 0xacd6c6b4
	s_mov_b32 s24, 0x910ea3b9
	v_add_f64 v[114:115], v[60:61], v[44:45]
	s_mov_b32 s37, 0x3fedd6d0
	s_mov_b32 s22, 0x5d8e7cdc
	v_mul_f64 v[100:101], v[120:121], s[30:31]
	v_add_f64 v[110:111], v[58:59], -v[66:67]
	s_mov_b32 s35, 0x3fc7851a
	s_mov_b32 s43, 0xbfc7851a
	;; [unrolled: 1-line block ×4, first 2 shown]
	v_add_f64 v[112:113], v[52:53], v[32:33]
	s_mov_b32 s25, 0xbfeb34fa
	s_mov_b32 s26, 0x4363dd80
	v_mul_f64 v[98:99], v[114:115], s[36:37]
	v_add_f64 v[108:109], v[46:47], -v[62:63]
	s_mov_b32 s23, 0xbfd71e95
	v_fma_f64 v[106:107], s[34:35], v[110:111], v[100:101]
	s_mov_b32 s51, 0x3fd71e95
	s_mov_b32 s50, s22
	v_fmac_f64_e32 v[100:101], s[42:43], v[110:111]
	s_mov_b32 s14, 0x6ed5f1bb
	v_add_f64 v[96:97], v[48:49], v[28:29]
	s_mov_b32 s29, 0x3fe7a5f6
	s_mov_b32 s20, 0x2a9d6da3
	v_mul_f64 v[78:79], v[112:113], s[24:25]
	v_add_f64 v[104:105], v[34:35], -v[54:55]
	s_mov_b32 s27, 0x3fe0d888
	v_fma_f64 v[68:69], s[22:23], v[108:109], v[98:99]
	v_add_f64 v[106:107], v[36:37], v[106:107]
	v_fmac_f64_e32 v[98:99], s[50:51], v[108:109]
	v_add_f64 v[100:101], v[36:37], v[100:101]
	s_mov_b32 s45, 0xbfe0d888
	s_mov_b32 s44, s26
	;; [unrolled: 1-line block ×3, first 2 shown]
	v_add_f64 v[94:95], v[40:41], v[20:21]
	s_mov_b32 s15, 0xbfe348c8
	s_mov_b32 s16, 0x6c9a05f6
	v_mul_f64 v[76:77], v[96:97], s[28:29]
	v_add_f64 v[102:103], v[30:31], -v[50:51]
	s_mov_b32 s21, 0xbfe58eea
	v_add_f64 v[68:69], v[68:69], v[106:107]
	v_fma_f64 v[106:107], s[26:27], v[104:105], v[78:79]
	v_add_f64 v[98:99], v[98:99], v[100:101]
	v_fmac_f64_e32 v[78:79], s[44:45], v[104:105]
	s_mov_b32 s57, 0x3fe58eea
	s_mov_b32 s56, s20
	;; [unrolled: 1-line block ×3, first 2 shown]
	v_add_f64 v[92:93], v[24:25], v[12:13]
	s_mov_b32 s19, 0x3fdc86fa
	s_mov_b32 s8, 0x7c9e640b
	v_mul_f64 v[74:75], v[94:95], s[14:15]
	v_add_f64 v[86:87], v[22:23], -v[42:43]
	s_mov_b32 s17, 0x3fe9895b
	v_add_f64 v[68:69], v[106:107], v[68:69]
	v_fma_f64 v[106:107], s[20:21], v[102:103], v[76:77]
	v_add_f64 v[78:79], v[78:79], v[98:99]
	s_mov_b32 s49, 0xbfe9895b
	s_mov_b32 s48, s16
	v_fmac_f64_e32 v[76:77], s[56:57], v[102:103]
	v_add_f64 v[82:83], v[16:17], v[8:9]
	s_mov_b32 s11, 0xbfd183b1
	s_mov_b32 s12, 0x923c349f
	v_mul_f64 v[72:73], v[92:93], s[18:19]
	v_add_f64 v[84:85], v[14:15], -v[26:27]
	s_mov_b32 s9, 0xbfeca52d
	v_add_f64 v[68:69], v[106:107], v[68:69]
	v_fma_f64 v[106:107], s[16:17], v[86:87], v[74:75]
	s_mov_b32 s55, 0x3feca52d
	s_mov_b32 s54, s8
	v_fmac_f64_e32 v[74:75], s[48:49], v[86:87]
	v_add_f64 v[76:77], v[76:77], v[78:79]
	v_mul_f64 v[70:71], v[82:83], s[10:11]
	v_add_f64 v[80:81], v[10:11], -v[18:19]
	s_mov_b32 s13, 0x3feec746
	v_add_f64 v[68:69], v[106:107], v[68:69]
	v_fma_f64 v[106:107], s[8:9], v[84:85], v[72:73]
	s_mov_b32 s40, 0x3259b75e
	s_mov_b32 s47, 0xbfeec746
	s_mov_b32 s46, s12
	v_fmac_f64_e32 v[72:73], s[54:55], v[84:85]
	v_add_f64 v[74:75], v[74:75], v[76:77]
	v_mul_f64 v[78:79], v[120:121], s[24:25]
	v_add_f64 v[68:69], v[106:107], v[68:69]
	v_fma_f64 v[106:107], s[12:13], v[80:81], v[70:71]
	s_mov_b32 s41, 0x3fb79ee6
	s_mov_b32 s38, 0xeb564b22
	v_fmac_f64_e32 v[70:71], s[46:47], v[80:81]
	v_add_f64 v[72:73], v[72:73], v[74:75]
	v_mul_f64 v[76:77], v[114:115], s[18:19]
	v_fma_f64 v[98:99], s[26:27], v[110:111], v[78:79]
	s_mov_b32 s39, 0xbfefdd0d
	s_mov_b32 s53, 0x3fefdd0d
	;; [unrolled: 1-line block ×3, first 2 shown]
	v_add_f64 v[70:71], v[70:71], v[72:73]
	v_mul_f64 v[74:75], v[112:113], s[40:41]
	v_fma_f64 v[72:73], s[8:9], v[108:109], v[76:77]
	v_add_f64 v[98:99], v[36:37], v[98:99]
	v_add_f64 v[72:73], v[72:73], v[98:99]
	v_fma_f64 v[98:99], s[52:53], v[104:105], v[74:75]
	v_add_f64 v[116:117], v[4:5], v[0:1]
	v_add_f64 v[72:73], v[98:99], v[72:73]
	v_mul_f64 v[98:99], v[96:97], s[14:15]
	v_add_f64 v[68:69], v[106:107], v[68:69]
	v_mul_f64 v[106:107], v[116:117], s[40:41]
	v_add_f64 v[118:119], v[2:3], -v[6:7]
	v_fma_f64 v[100:101], s[48:49], v[102:103], v[98:99]
	v_fma_f64 v[122:123], s[38:39], v[118:119], v[106:107]
	v_fmac_f64_e32 v[106:107], s[52:53], v[118:119]
	v_add_f64 v[72:73], v[100:101], v[72:73]
	v_mul_f64 v[100:101], v[94:95], s[36:37]
	v_fmac_f64_e32 v[78:79], s[44:45], v[110:111]
	v_add_f64 v[70:71], v[106:107], v[70:71]
	v_fma_f64 v[106:107], s[50:51], v[86:87], v[100:101]
	v_fmac_f64_e32 v[76:77], s[54:55], v[108:109]
	v_add_f64 v[78:79], v[36:37], v[78:79]
	v_add_f64 v[72:73], v[106:107], v[72:73]
	v_mul_f64 v[106:107], v[92:93], s[30:31]
	v_add_f64 v[76:77], v[76:77], v[78:79]
	v_fmac_f64_e32 v[74:75], s[38:39], v[104:105]
	v_add_f64 v[68:69], v[122:123], v[68:69]
	v_fma_f64 v[122:123], s[34:35], v[84:85], v[106:107]
	v_add_f64 v[74:75], v[74:75], v[76:77]
	v_fmac_f64_e32 v[98:99], s[16:17], v[102:103]
	v_add_f64 v[72:73], v[122:123], v[72:73]
	v_mul_f64 v[122:123], v[82:83], s[28:29]
	v_add_f64 v[74:75], v[98:99], v[74:75]
	v_fmac_f64_e32 v[100:101], s[22:23], v[86:87]
	v_fma_f64 v[124:125], s[20:21], v[80:81], v[122:123]
	v_add_f64 v[74:75], v[100:101], v[74:75]
	v_fmac_f64_e32 v[106:107], s[42:43], v[84:85]
	v_add_f64 v[72:73], v[124:125], v[72:73]
	v_mul_f64 v[124:125], v[116:117], s[10:11]
	v_fmac_f64_e32 v[122:123], s[56:57], v[80:81]
	v_add_f64 v[74:75], v[106:107], v[74:75]
	v_fma_f64 v[126:127], s[12:13], v[118:119], v[124:125]
	v_fmac_f64_e32 v[124:125], s[46:47], v[118:119]
	v_add_f64 v[74:75], v[122:123], v[74:75]
	v_mul_f64 v[98:99], v[120:121], s[14:15]
	v_add_f64 v[76:77], v[124:125], v[74:75]
	v_mul_f64 v[78:79], v[114:115], s[10:11]
	v_fma_f64 v[74:75], s[16:17], v[110:111], v[98:99]
	v_add_f64 v[74:75], v[36:37], v[74:75]
	v_fma_f64 v[100:101], s[46:47], v[108:109], v[78:79]
	v_add_f64 v[74:75], v[100:101], v[74:75]
	v_mul_f64 v[100:101], v[112:113], s[36:37]
	v_fma_f64 v[106:107], s[50:51], v[104:105], v[100:101]
	v_add_f64 v[74:75], v[106:107], v[74:75]
	v_mul_f64 v[106:107], v[96:97], s[24:25]
	v_fma_f64 v[122:123], s[26:27], v[102:103], v[106:107]
	v_add_f64 v[74:75], v[122:123], v[74:75]
	v_mul_f64 v[122:123], v[94:95], s[40:41]
	v_fmac_f64_e32 v[98:99], s[48:49], v[110:111]
	v_fma_f64 v[124:125], s[38:39], v[86:87], v[122:123]
	v_fmac_f64_e32 v[78:79], s[12:13], v[108:109]
	v_add_f64 v[98:99], v[36:37], v[98:99]
	v_add_f64 v[74:75], v[124:125], v[74:75]
	v_mul_f64 v[124:125], v[92:93], s[28:29]
	v_add_f64 v[78:79], v[78:79], v[98:99]
	v_fmac_f64_e32 v[100:101], s[22:23], v[104:105]
	v_add_f64 v[72:73], v[126:127], v[72:73]
	v_fma_f64 v[126:127], s[56:57], v[84:85], v[124:125]
	v_add_f64 v[78:79], v[100:101], v[78:79]
	v_fmac_f64_e32 v[106:107], s[44:45], v[102:103]
	v_add_f64 v[74:75], v[126:127], v[74:75]
	v_mul_f64 v[126:127], v[82:83], s[30:31]
	v_add_f64 v[78:79], v[106:107], v[78:79]
	v_fmac_f64_e32 v[122:123], s[52:53], v[86:87]
	v_fma_f64 v[128:129], s[34:35], v[80:81], v[126:127]
	v_add_f64 v[78:79], v[122:123], v[78:79]
	v_fmac_f64_e32 v[124:125], s[20:21], v[84:85]
	v_add_f64 v[74:75], v[128:129], v[74:75]
	v_mul_f64 v[128:129], v[116:117], s[18:19]
	v_add_f64 v[78:79], v[124:125], v[78:79]
	v_fmac_f64_e32 v[126:127], s[42:43], v[80:81]
	v_fma_f64 v[130:131], s[8:9], v[118:119], v[128:129]
	v_add_f64 v[78:79], v[126:127], v[78:79]
	v_fmac_f64_e32 v[128:129], s[54:55], v[118:119]
	v_mul_f64 v[100:101], v[120:121], s[10:11]
	v_add_f64 v[98:99], v[128:129], v[78:79]
	v_fma_f64 v[78:79], s[12:13], v[110:111], v[100:101]
	v_mul_f64 v[106:107], v[114:115], s[24:25]
	v_add_f64 v[78:79], v[36:37], v[78:79]
	v_fma_f64 v[122:123], s[44:45], v[108:109], v[106:107]
	v_add_f64 v[78:79], v[122:123], v[78:79]
	v_mul_f64 v[122:123], v[112:113], s[28:29]
	v_fma_f64 v[124:125], s[20:21], v[104:105], v[122:123]
	v_add_f64 v[78:79], v[124:125], v[78:79]
	v_mul_f64 v[124:125], v[96:97], s[18:19]
	v_fma_f64 v[126:127], s[54:55], v[102:103], v[124:125]
	v_add_f64 v[78:79], v[126:127], v[78:79]
	v_mul_f64 v[126:127], v[94:95], s[30:31]
	v_fmac_f64_e32 v[100:101], s[46:47], v[110:111]
	v_fma_f64 v[128:129], s[34:35], v[86:87], v[126:127]
	v_fmac_f64_e32 v[106:107], s[26:27], v[108:109]
	v_add_f64 v[100:101], v[36:37], v[100:101]
	v_add_f64 v[78:79], v[128:129], v[78:79]
	v_mul_f64 v[128:129], v[92:93], s[40:41]
	v_add_f64 v[100:101], v[106:107], v[100:101]
	v_fmac_f64_e32 v[122:123], s[56:57], v[104:105]
	v_add_f64 v[74:75], v[130:131], v[74:75]
	v_fma_f64 v[130:131], s[38:39], v[84:85], v[128:129]
	v_add_f64 v[100:101], v[122:123], v[100:101]
	v_fmac_f64_e32 v[124:125], s[8:9], v[102:103]
	v_add_f64 v[78:79], v[130:131], v[78:79]
	v_mul_f64 v[130:131], v[82:83], s[36:37]
	v_add_f64 v[100:101], v[124:125], v[100:101]
	v_fmac_f64_e32 v[126:127], s[42:43], v[86:87]
	v_fma_f64 v[132:133], s[50:51], v[80:81], v[130:131]
	v_add_f64 v[100:101], v[126:127], v[100:101]
	v_fmac_f64_e32 v[128:129], s[52:53], v[84:85]
	v_add_f64 v[78:79], v[132:133], v[78:79]
	v_mul_f64 v[132:133], v[116:117], s[14:15]
	v_add_f64 v[100:101], v[128:129], v[100:101]
	v_fmac_f64_e32 v[130:131], s[22:23], v[80:81]
	v_fma_f64 v[134:135], s[16:17], v[118:119], v[132:133]
	v_add_f64 v[100:101], v[130:131], v[100:101]
	v_fmac_f64_e32 v[132:133], s[48:49], v[118:119]
	v_mul_f64 v[106:107], v[120:121], s[40:41]
	v_add_f64 v[124:125], v[132:133], v[100:101]
	v_fma_f64 v[100:101], s[52:53], v[110:111], v[106:107]
	v_mul_f64 v[122:123], v[114:115], s[30:31]
	v_add_f64 v[100:101], v[36:37], v[100:101]
	v_fma_f64 v[126:127], s[34:35], v[108:109], v[122:123]
	v_add_f64 v[100:101], v[126:127], v[100:101]
	v_mul_f64 v[126:127], v[112:113], s[10:11]
	v_fma_f64 v[128:129], s[46:47], v[104:105], v[126:127]
	v_add_f64 v[100:101], v[128:129], v[100:101]
	v_mul_f64 v[128:129], v[96:97], s[36:37]
	v_fma_f64 v[130:131], s[22:23], v[102:103], v[128:129]
	v_add_f64 v[100:101], v[130:131], v[100:101]
	v_mul_f64 v[130:131], v[94:95], s[18:19]
	v_fmac_f64_e32 v[106:107], s[38:39], v[110:111]
	v_fma_f64 v[132:133], s[54:55], v[86:87], v[130:131]
	v_fmac_f64_e32 v[122:123], s[42:43], v[108:109]
	v_add_f64 v[106:107], v[36:37], v[106:107]
	v_add_f64 v[100:101], v[132:133], v[100:101]
	v_mul_f64 v[132:133], v[92:93], s[24:25]
	v_add_f64 v[106:107], v[122:123], v[106:107]
	v_fmac_f64_e32 v[126:127], s[12:13], v[104:105]
	v_add_f64 v[78:79], v[134:135], v[78:79]
	v_fma_f64 v[134:135], s[26:27], v[84:85], v[132:133]
	v_add_f64 v[106:107], v[126:127], v[106:107]
	v_fmac_f64_e32 v[128:129], s[50:51], v[102:103]
	v_add_f64 v[100:101], v[134:135], v[100:101]
	v_mul_f64 v[134:135], v[82:83], s[14:15]
	v_add_f64 v[106:107], v[128:129], v[106:107]
	v_fmac_f64_e32 v[130:131], s[8:9], v[86:87]
	v_fma_f64 v[136:137], s[48:49], v[80:81], v[134:135]
	v_add_f64 v[106:107], v[130:131], v[106:107]
	v_fmac_f64_e32 v[132:133], s[44:45], v[84:85]
	v_add_f64 v[100:101], v[136:137], v[100:101]
	v_mul_f64 v[136:137], v[116:117], s[28:29]
	v_add_f64 v[106:107], v[132:133], v[106:107]
	v_fmac_f64_e32 v[134:135], s[16:17], v[80:81]
	v_fma_f64 v[138:139], s[20:21], v[118:119], v[136:137]
	v_add_f64 v[106:107], v[134:135], v[106:107]
	v_fmac_f64_e32 v[136:137], s[56:57], v[118:119]
	v_mul_f64 v[122:123], v[120:121], s[18:19]
	v_add_f64 v[126:127], v[136:137], v[106:107]
	v_fma_f64 v[106:107], s[54:55], v[110:111], v[122:123]
	v_mul_f64 v[128:129], v[114:115], s[14:15]
	v_add_f64 v[106:107], v[36:37], v[106:107]
	v_fma_f64 v[130:131], s[16:17], v[108:109], v[128:129]
	v_add_f64 v[106:107], v[130:131], v[106:107]
	v_mul_f64 v[130:131], v[112:113], s[30:31]
	v_fma_f64 v[132:133], s[42:43], v[104:105], v[130:131]
	v_add_f64 v[106:107], v[132:133], v[106:107]
	v_mul_f64 v[132:133], v[96:97], s[10:11]
	v_fma_f64 v[134:135], s[46:47], v[102:103], v[132:133]
	v_add_f64 v[106:107], v[134:135], v[106:107]
	v_mul_f64 v[134:135], v[94:95], s[28:29]
	v_fmac_f64_e32 v[122:123], s[8:9], v[110:111]
	v_fma_f64 v[136:137], s[20:21], v[86:87], v[134:135]
	v_fmac_f64_e32 v[128:129], s[48:49], v[108:109]
	v_add_f64 v[122:123], v[36:37], v[122:123]
	v_add_f64 v[106:107], v[136:137], v[106:107]
	v_mul_f64 v[136:137], v[92:93], s[36:37]
	v_add_f64 v[122:123], v[128:129], v[122:123]
	v_fmac_f64_e32 v[130:131], s[34:35], v[104:105]
	v_add_f64 v[100:101], v[138:139], v[100:101]
	v_fma_f64 v[138:139], s[50:51], v[84:85], v[136:137]
	v_add_f64 v[122:123], v[130:131], v[122:123]
	v_fmac_f64_e32 v[132:133], s[12:13], v[102:103]
	v_add_f64 v[106:107], v[138:139], v[106:107]
	v_mul_f64 v[138:139], v[82:83], s[40:41]
	v_add_f64 v[122:123], v[132:133], v[122:123]
	v_fmac_f64_e32 v[134:135], s[56:57], v[86:87]
	v_fma_f64 v[140:141], s[52:53], v[80:81], v[138:139]
	v_add_f64 v[122:123], v[134:135], v[122:123]
	v_fmac_f64_e32 v[136:137], s[22:23], v[84:85]
	v_add_f64 v[106:107], v[140:141], v[106:107]
	v_mul_f64 v[140:141], v[116:117], s[24:25]
	v_add_f64 v[122:123], v[136:137], v[122:123]
	v_fmac_f64_e32 v[138:139], s[38:39], v[80:81]
	v_fma_f64 v[142:143], s[26:27], v[118:119], v[140:141]
	v_add_f64 v[122:123], v[138:139], v[122:123]
	v_fmac_f64_e32 v[140:141], s[44:45], v[118:119]
	v_mul_f64 v[130:131], v[120:121], s[28:29]
	v_add_f64 v[128:129], v[140:141], v[122:123]
	v_fma_f64 v[122:123], s[56:57], v[110:111], v[130:131]
	v_mul_f64 v[132:133], v[114:115], s[40:41]
	v_add_f64 v[122:123], v[36:37], v[122:123]
	v_fma_f64 v[134:135], s[52:53], v[108:109], v[132:133]
	v_add_f64 v[122:123], v[134:135], v[122:123]
	v_mul_f64 v[134:135], v[112:113], s[14:15]
	v_fmac_f64_e32 v[130:131], s[20:21], v[110:111]
	v_fma_f64 v[136:137], s[16:17], v[104:105], v[134:135]
	v_fmac_f64_e32 v[132:133], s[38:39], v[108:109]
	v_add_f64 v[130:131], v[36:37], v[130:131]
	v_mul_f64 v[120:121], v[120:121], s[36:37]
	v_add_f64 v[122:123], v[136:137], v[122:123]
	v_mul_f64 v[136:137], v[96:97], s[30:31]
	v_add_f64 v[130:131], v[132:133], v[130:131]
	v_fmac_f64_e32 v[134:135], s[48:49], v[104:105]
	v_mul_f64 v[114:115], v[114:115], s[28:29]
	v_fma_f64 v[132:133], s[50:51], v[110:111], v[120:121]
	v_fma_f64 v[138:139], s[34:35], v[102:103], v[136:137]
	v_add_f64 v[130:131], v[134:135], v[130:131]
	v_add_f64 v[132:133], v[36:37], v[132:133]
	v_fma_f64 v[134:135], s[56:57], v[108:109], v[114:115]
	v_mul_f64 v[112:113], v[112:113], s[18:19]
	v_add_f64 v[122:123], v[138:139], v[122:123]
	v_mul_f64 v[138:139], v[94:95], s[24:25]
	v_add_f64 v[132:133], v[134:135], v[132:133]
	v_fma_f64 v[134:135], s[54:55], v[104:105], v[112:113]
	v_mul_f64 v[96:97], v[96:97], s[40:41]
	v_fma_f64 v[140:141], s[44:45], v[86:87], v[138:139]
	v_add_f64 v[132:133], v[134:135], v[132:133]
	v_fma_f64 v[134:135], s[52:53], v[102:103], v[96:97]
	v_mul_f64 v[94:95], v[94:95], s[10:11]
	v_add_f64 v[122:123], v[140:141], v[122:123]
	v_mul_f64 v[140:141], v[92:93], s[10:11]
	v_add_f64 v[132:133], v[134:135], v[132:133]
	v_fma_f64 v[134:135], s[12:13], v[86:87], v[94:95]
	v_mul_f64 v[92:93], v[92:93], s[14:15]
	v_add_f64 v[106:107], v[142:143], v[106:107]
	v_fma_f64 v[142:143], s[46:47], v[84:85], v[140:141]
	v_add_f64 v[132:133], v[134:135], v[132:133]
	v_fma_f64 v[134:135], s[16:17], v[84:85], v[92:93]
	v_add_f64 v[122:123], v[142:143], v[122:123]
	v_mul_f64 v[142:143], v[82:83], s[18:19]
	v_add_f64 v[132:133], v[134:135], v[132:133]
	v_mul_f64 v[134:135], v[82:83], s[24:25]
	v_fmac_f64_e32 v[120:121], s[22:23], v[110:111]
	v_fma_f64 v[144:145], s[8:9], v[80:81], v[142:143]
	v_fmac_f64_e32 v[142:143], s[54:55], v[80:81]
	v_fma_f64 v[82:83], s[26:27], v[80:81], v[134:135]
	v_fmac_f64_e32 v[134:135], s[44:45], v[80:81]
	v_add_f64 v[80:81], v[36:37], v[120:121]
	v_add_f64 v[36:37], v[56:57], v[36:37]
	;; [unrolled: 1-line block ×9, first 2 shown]
	v_fmac_f64_e32 v[114:115], s[20:21], v[108:109]
	v_add_f64 v[36:37], v[4:5], v[36:37]
	v_fmac_f64_e32 v[112:113], s[8:9], v[104:105]
	v_add_f64 v[80:81], v[114:115], v[80:81]
	v_add_f64 v[36:37], v[16:17], v[36:37]
	v_fmac_f64_e32 v[96:97], s[38:39], v[102:103]
	v_add_f64 v[80:81], v[112:113], v[80:81]
	v_add_f64 v[36:37], v[24:25], v[36:37]
	v_fmac_f64_e32 v[136:137], s[42:43], v[102:103]
	v_fmac_f64_e32 v[94:95], s[46:47], v[86:87]
	v_add_f64 v[80:81], v[96:97], v[80:81]
	v_add_f64 v[36:37], v[40:41], v[36:37]
	;; [unrolled: 1-line block ×3, first 2 shown]
	v_fmac_f64_e32 v[138:139], s[26:27], v[86:87]
	v_fmac_f64_e32 v[92:93], s[48:49], v[84:85]
	v_add_f64 v[80:81], v[94:95], v[80:81]
	v_add_f64 v[36:37], v[48:49], v[36:37]
	;; [unrolled: 1-line block ×3, first 2 shown]
	v_mul_f64 v[144:145], v[116:117], s[36:37]
	v_add_f64 v[130:131], v[138:139], v[130:131]
	v_fmac_f64_e32 v[140:141], s[12:13], v[84:85]
	v_mul_f64 v[116:117], v[116:117], s[30:31]
	v_add_f64 v[80:81], v[92:93], v[80:81]
	v_add_f64 v[36:37], v[52:53], v[36:37]
	;; [unrolled: 1-line block ×4, first 2 shown]
	v_fma_f64 v[132:133], s[34:35], v[118:119], v[116:117]
	v_fmac_f64_e32 v[116:117], s[42:43], v[118:119]
	v_add_f64 v[80:81], v[134:135], v[80:81]
	v_add_f64 v[36:37], v[60:61], v[36:37]
	s_movk_i32 s8, 0x88
	v_fma_f64 v[146:147], s[22:23], v[118:119], v[144:145]
	v_add_f64 v[130:131], v[142:143], v[130:131]
	v_fmac_f64_e32 v[144:145], s[50:51], v[118:119]
	v_add_f64 v[80:81], v[116:117], v[80:81]
	v_add_f64 v[36:37], v[64:65], v[36:37]
	v_mad_u32_u24 v84, v88, s8, 0
	v_add_f64 v[122:123], v[146:147], v[122:123]
	v_add_f64 v[130:131], v[144:145], v[130:131]
	;; [unrolled: 1-line block ×3, first 2 shown]
	ds_write2_b64 v84, v[36:37], v[80:81] offset1:1
	ds_write2_b64 v84, v[130:131], v[128:129] offset0:2 offset1:3
	ds_write2_b64 v84, v[126:127], v[124:125] offset0:4 offset1:5
	;; [unrolled: 1-line block ×7, first 2 shown]
	ds_write_b64 v84, v[82:83] offset:128
.LBB0_13:
	s_or_b64 exec, exec, s[6:7]
	v_lshl_add_u32 v101, v88, 3, 0
	v_add_u32_e32 v111, 0xee, v88
	v_add_u32_e32 v102, 0x1400, v101
	;; [unrolled: 1-line block ×4, first 2 shown]
	v_lshl_add_u32 v89, v111, 3, 0
	v_add_u32_e32 v104, 0x2400, v101
	v_add_u32_e32 v108, 0x253, v88
	;; [unrolled: 1-line block ×3, first 2 shown]
	s_waitcnt lgkmcnt(0)
	s_barrier
	ds_read2_b64 v[72:75], v101 offset1:119
	ds_read2_b64 v[68:71], v102 offset0:74 offset1:193
	ds_read2_b64 v[76:79], v103 offset0:56 offset1:175
	v_lshl_add_u32 v106, v110, 3, 0
	ds_read2_b64 v[80:83], v104 offset0:38 offset1:157
	v_lshl_add_u32 v100, v109, 3, 0
	v_lshl_add_u32 v107, v108, 3, 0
	ds_read_b64 v[96:97], v89
	ds_read_b64 v[94:95], v106
	;; [unrolled: 1-line block ×3, first 2 shown]
	s_waitcnt vmcnt(16)
	ds_read_b64 v[36:37], v107
	v_add_u32_e32 v105, 0x2c00, v101
	ds_read2_b64 v[84:87], v105 offset0:20 offset1:139
	s_waitcnt lgkmcnt(0)
	s_barrier
	s_and_saveexec_b64 s[6:7], s[2:3]
	s_cbranch_execz .LBB0_15
; %bb.14:
	s_waitcnt vmcnt(15)
	v_add_f64 v[98:99], v[58:59], v[38:39]
	s_waitcnt vmcnt(14)
	v_add_f64 v[98:99], v[46:47], v[98:99]
	s_waitcnt vmcnt(13)
	v_add_f64 v[98:99], v[34:35], v[98:99]
	s_waitcnt vmcnt(12)
	v_add_f64 v[98:99], v[30:31], v[98:99]
	s_waitcnt vmcnt(11)
	v_add_f64 v[98:99], v[22:23], v[98:99]
	s_waitcnt vmcnt(10)
	v_add_f64 v[98:99], v[14:15], v[98:99]
	s_waitcnt vmcnt(9)
	v_add_f64 v[98:99], v[10:11], v[98:99]
	s_waitcnt vmcnt(8)
	v_add_f64 v[98:99], v[2:3], v[98:99]
	s_waitcnt vmcnt(7)
	v_add_f64 v[98:99], v[6:7], v[98:99]
	s_waitcnt vmcnt(6)
	v_add_f64 v[98:99], v[18:19], v[98:99]
	s_waitcnt vmcnt(5)
	v_add_f64 v[98:99], v[26:27], v[98:99]
	s_waitcnt vmcnt(4)
	v_add_f64 v[98:99], v[42:43], v[98:99]
	s_waitcnt vmcnt(3)
	v_add_f64 v[98:99], v[50:51], v[98:99]
	s_mov_b32 s18, 0x5d8e7cdc
	s_mov_b32 s28, 0x2a9d6da3
	;; [unrolled: 1-line block ×8, first 2 shown]
	s_waitcnt vmcnt(2)
	v_add_f64 v[98:99], v[54:55], v[98:99]
	s_waitcnt vmcnt(0)
	v_add_f64 v[56:57], v[56:57], -v[64:65]
	s_mov_b32 s19, 0xbfd71e95
	s_mov_b32 s12, 0x370991
	s_mov_b32 s29, 0xbfe58eea
	s_mov_b32 s10, 0x75d4884
	s_mov_b32 s41, 0xbfeca52d
	s_mov_b32 s8, 0x2b2883cd
	s_mov_b32 s31, 0xbfefdd0d
	s_mov_b32 s2, 0x3259b75e
	s_mov_b32 s15, 0xbfeec746
	s_mov_b32 s16, 0xc61f0d01
	s_mov_b32 s21, 0xbfe9895b
	s_mov_b32 s22, 0x6ed5f1bb
	s_mov_b32 s25, 0xbfe0d888
	s_mov_b32 s26, 0x910ea3b9
	s_mov_b32 s35, 0xbfc7851a
	s_mov_b32 s36, 0x7faef3
	v_add_f64 v[98:99], v[62:63], v[98:99]
	v_add_f64 v[58:59], v[66:67], v[58:59]
	v_mul_f64 v[64:65], v[56:57], s[18:19]
	s_mov_b32 s13, 0x3fedd6d0
	v_mul_f64 v[112:113], v[56:57], s[28:29]
	s_mov_b32 s11, 0x3fe7a5f6
	;; [unrolled: 2-line block ×8, first 2 shown]
	v_add_f64 v[98:99], v[66:67], v[98:99]
	v_fma_f64 v[66:67], v[58:59], s[12:13], -v[64:65]
	v_fmac_f64_e32 v[64:65], s[12:13], v[58:59]
	v_fma_f64 v[114:115], v[58:59], s[10:11], -v[112:113]
	v_fmac_f64_e32 v[112:113], s[10:11], v[58:59]
	;; [unrolled: 2-line block ×8, first 2 shown]
	v_add_f64 v[44:45], v[44:45], -v[60:61]
	v_add_f64 v[66:67], v[38:39], v[66:67]
	v_add_f64 v[64:65], v[38:39], v[64:65]
	;; [unrolled: 1-line block ×17, first 2 shown]
	v_mul_f64 v[56:57], v[44:45], s[28:29]
	v_fma_f64 v[58:59], v[46:47], s[10:11], -v[56:57]
	v_fmac_f64_e32 v[56:57], s[10:11], v[46:47]
	v_mul_f64 v[60:61], v[44:45], s[30:31]
	v_add_f64 v[56:57], v[56:57], v[64:65]
	v_fma_f64 v[62:63], v[46:47], s[2:3], -v[60:61]
	v_fmac_f64_e32 v[60:61], s[2:3], v[46:47]
	v_mul_f64 v[64:65], v[44:45], s[20:21]
	v_add_f64 v[58:59], v[58:59], v[66:67]
	v_add_f64 v[60:61], v[60:61], v[112:113]
	v_fma_f64 v[66:67], v[46:47], s[22:23], -v[64:65]
	v_fmac_f64_e32 v[64:65], s[22:23], v[46:47]
	v_mul_f64 v[112:113], v[44:45], s[34:35]
	s_mov_b32 s49, 0x3fe0d888
	s_mov_b32 s48, s24
	v_add_f64 v[62:63], v[62:63], v[114:115]
	v_add_f64 v[64:65], v[64:65], v[116:117]
	v_fma_f64 v[114:115], v[46:47], s[36:37], -v[112:113]
	v_fmac_f64_e32 v[112:113], s[36:37], v[46:47]
	v_mul_f64 v[116:117], v[44:45], s[48:49]
	s_mov_b32 s47, 0x3feec746
	s_mov_b32 s46, s14
	;; [unrolled: 7-line block ×3, first 2 shown]
	s_mov_b32 s43, 0x3fd71e95
	s_mov_b32 s42, s18
	v_add_f64 v[114:115], v[114:115], v[122:123]
	v_add_f64 v[116:117], v[116:117], v[124:125]
	v_fma_f64 v[122:123], v[46:47], s[16:17], -v[120:121]
	v_fmac_f64_e32 v[120:121], s[16:17], v[46:47]
	v_mul_f64 v[124:125], v[44:45], s[38:39]
	v_mul_f64 v[44:45], v[44:45], s[42:43]
	v_add_f64 v[120:121], v[120:121], v[128:129]
	v_fma_f64 v[128:129], v[46:47], s[12:13], -v[44:45]
	v_fmac_f64_e32 v[44:45], s[12:13], v[46:47]
	v_add_f64 v[32:33], v[32:33], -v[52:53]
	v_add_f64 v[38:39], v[44:45], v[38:39]
	v_add_f64 v[34:35], v[54:55], v[34:35]
	v_mul_f64 v[44:45], v[32:33], s[40:41]
	v_add_f64 v[118:119], v[118:119], v[126:127]
	v_fma_f64 v[126:127], v[46:47], s[8:9], -v[124:125]
	v_fmac_f64_e32 v[124:125], s[8:9], v[46:47]
	v_fma_f64 v[46:47], v[34:35], s[8:9], -v[44:45]
	v_fmac_f64_e32 v[44:45], s[8:9], v[34:35]
	v_mul_f64 v[52:53], v[32:33], s[20:21]
	s_mov_b32 s45, 0x3fc7851a
	s_mov_b32 s44, s34
	v_add_f64 v[44:45], v[44:45], v[56:57]
	v_fma_f64 v[54:55], v[34:35], s[22:23], -v[52:53]
	v_fmac_f64_e32 v[52:53], s[22:23], v[34:35]
	v_mul_f64 v[56:57], v[32:33], s[44:45]
	v_add_f64 v[46:47], v[46:47], v[58:59]
	v_add_f64 v[52:53], v[52:53], v[60:61]
	v_fma_f64 v[58:59], v[34:35], s[36:37], -v[56:57]
	v_fmac_f64_e32 v[56:57], s[36:37], v[34:35]
	v_mul_f64 v[60:61], v[32:33], s[46:47]
	s_mov_b32 s45, 0x3fe58eea
	s_mov_b32 s44, s28
	v_add_f64 v[54:55], v[54:55], v[62:63]
	v_add_f64 v[56:57], v[56:57], v[64:65]
	v_fma_f64 v[62:63], v[34:35], s[16:17], -v[60:61]
	v_fmac_f64_e32 v[60:61], s[16:17], v[34:35]
	v_mul_f64 v[64:65], v[32:33], s[44:45]
	v_add_f64 v[58:59], v[58:59], v[66:67]
	v_add_f64 v[60:61], v[60:61], v[112:113]
	v_fma_f64 v[66:67], v[34:35], s[10:11], -v[64:65]
	v_fmac_f64_e32 v[64:65], s[10:11], v[34:35]
	v_mul_f64 v[112:113], v[32:33], s[18:19]
	;; [unrolled: 5-line block ×3, first 2 shown]
	v_mul_f64 v[32:33], v[32:33], s[24:25]
	v_add_f64 v[28:29], v[28:29], -v[48:49]
	v_add_f64 v[66:67], v[66:67], v[118:119]
	v_add_f64 v[112:113], v[112:113], v[120:121]
	v_fma_f64 v[118:119], v[34:35], s[2:3], -v[116:117]
	v_fmac_f64_e32 v[116:117], s[2:3], v[34:35]
	v_fma_f64 v[120:121], v[34:35], s[26:27], -v[32:33]
	v_fmac_f64_e32 v[32:33], s[26:27], v[34:35]
	v_add_f64 v[30:31], v[50:51], v[30:31]
	v_mul_f64 v[34:35], v[28:29], s[30:31]
	v_add_f64 v[32:33], v[32:33], v[38:39]
	v_fma_f64 v[38:39], v[30:31], s[2:3], -v[34:35]
	v_fmac_f64_e32 v[34:35], s[2:3], v[30:31]
	v_add_f64 v[34:35], v[34:35], v[44:45]
	v_mul_f64 v[44:45], v[28:29], s[34:35]
	v_add_f64 v[38:39], v[38:39], v[46:47]
	v_fma_f64 v[46:47], v[30:31], s[36:37], -v[44:45]
	v_fmac_f64_e32 v[44:45], s[36:37], v[30:31]
	v_mul_f64 v[48:49], v[28:29], s[46:47]
	v_add_f64 v[44:45], v[44:45], v[52:53]
	v_fma_f64 v[50:51], v[30:31], s[16:17], -v[48:49]
	v_fmac_f64_e32 v[48:49], s[16:17], v[30:31]
	v_mul_f64 v[52:53], v[28:29], s[42:43]
	v_add_f64 v[46:47], v[46:47], v[54:55]
	v_add_f64 v[48:49], v[48:49], v[56:57]
	v_fma_f64 v[54:55], v[30:31], s[12:13], -v[52:53]
	v_fmac_f64_e32 v[52:53], s[12:13], v[30:31]
	v_mul_f64 v[56:57], v[28:29], s[40:41]
	v_add_f64 v[50:51], v[50:51], v[58:59]
	v_add_f64 v[52:53], v[52:53], v[60:61]
	v_fma_f64 v[58:59], v[30:31], s[8:9], -v[56:57]
	v_fmac_f64_e32 v[56:57], s[8:9], v[30:31]
	v_mul_f64 v[60:61], v[28:29], s[24:25]
	s_mov_b32 s51, 0x3fe9895b
	s_mov_b32 s50, s20
	v_add_f64 v[54:55], v[54:55], v[62:63]
	v_add_f64 v[56:57], v[56:57], v[64:65]
	v_fma_f64 v[62:63], v[30:31], s[26:27], -v[60:61]
	v_fmac_f64_e32 v[60:61], s[26:27], v[30:31]
	v_mul_f64 v[64:65], v[28:29], s[50:51]
	v_mul_f64 v[28:29], v[28:29], s[44:45]
	v_add_f64 v[20:21], v[20:21], -v[40:41]
	v_add_f64 v[58:59], v[58:59], v[66:67]
	v_add_f64 v[60:61], v[60:61], v[112:113]
	v_fma_f64 v[66:67], v[30:31], s[22:23], -v[64:65]
	v_fmac_f64_e32 v[64:65], s[22:23], v[30:31]
	v_fma_f64 v[112:113], v[30:31], s[10:11], -v[28:29]
	v_fmac_f64_e32 v[28:29], s[10:11], v[30:31]
	v_add_f64 v[22:23], v[42:43], v[22:23]
	v_mul_f64 v[30:31], v[20:21], s[14:15]
	v_add_f64 v[28:29], v[28:29], v[32:33]
	v_fma_f64 v[32:33], v[22:23], s[16:17], -v[30:31]
	v_fmac_f64_e32 v[30:31], s[16:17], v[22:23]
	v_add_f64 v[30:31], v[30:31], v[34:35]
	v_mul_f64 v[34:35], v[20:21], s[48:49]
	v_add_f64 v[32:33], v[32:33], v[38:39]
	v_fma_f64 v[38:39], v[22:23], s[26:27], -v[34:35]
	v_fmac_f64_e32 v[34:35], s[26:27], v[22:23]
	v_mul_f64 v[40:41], v[20:21], s[44:45]
	v_add_f64 v[34:35], v[34:35], v[44:45]
	v_fma_f64 v[42:43], v[22:23], s[10:11], -v[40:41]
	v_fmac_f64_e32 v[40:41], s[10:11], v[22:23]
	v_mul_f64 v[44:45], v[20:21], s[40:41]
	v_add_f64 v[38:39], v[38:39], v[46:47]
	v_add_f64 v[40:41], v[40:41], v[48:49]
	v_fma_f64 v[46:47], v[22:23], s[8:9], -v[44:45]
	v_fmac_f64_e32 v[44:45], s[8:9], v[22:23]
	v_mul_f64 v[48:49], v[20:21], s[34:35]
	s_mov_b32 s41, 0x3fefdd0d
	s_mov_b32 s40, s30
	v_add_f64 v[42:43], v[42:43], v[50:51]
	v_add_f64 v[44:45], v[44:45], v[52:53]
	v_fma_f64 v[50:51], v[22:23], s[36:37], -v[48:49]
	v_fmac_f64_e32 v[48:49], s[36:37], v[22:23]
	v_mul_f64 v[52:53], v[20:21], s[40:41]
	v_add_f64 v[46:47], v[46:47], v[54:55]
	v_add_f64 v[48:49], v[48:49], v[56:57]
	v_fma_f64 v[54:55], v[22:23], s[2:3], -v[52:53]
	v_fmac_f64_e32 v[52:53], s[2:3], v[22:23]
	v_mul_f64 v[56:57], v[20:21], s[18:19]
	v_mul_f64 v[20:21], v[20:21], s[20:21]
	v_add_f64 v[12:13], v[12:13], -v[24:25]
	v_add_f64 v[50:51], v[50:51], v[58:59]
	v_add_f64 v[52:53], v[52:53], v[60:61]
	v_fma_f64 v[58:59], v[22:23], s[12:13], -v[56:57]
	v_fmac_f64_e32 v[56:57], s[12:13], v[22:23]
	v_fma_f64 v[60:61], v[22:23], s[22:23], -v[20:21]
	v_fmac_f64_e32 v[20:21], s[22:23], v[22:23]
	v_add_f64 v[14:15], v[26:27], v[14:15]
	v_mul_f64 v[22:23], v[12:13], s[20:21]
	v_fma_f64 v[24:25], v[14:15], s[22:23], -v[22:23]
	v_fmac_f64_e32 v[22:23], s[22:23], v[14:15]
	v_mul_f64 v[26:27], v[12:13], s[46:47]
	v_add_f64 v[20:21], v[20:21], v[28:29]
	v_add_f64 v[22:23], v[22:23], v[30:31]
	v_fma_f64 v[28:29], v[14:15], s[16:17], -v[26:27]
	v_fmac_f64_e32 v[26:27], s[16:17], v[14:15]
	v_mul_f64 v[30:31], v[12:13], s[18:19]
	v_add_f64 v[24:25], v[24:25], v[32:33]
	v_add_f64 v[26:27], v[26:27], v[34:35]
	;; [unrolled: 5-line block ×5, first 2 shown]
	v_fma_f64 v[46:47], v[14:15], s[10:11], -v[44:45]
	v_fmac_f64_e32 v[44:45], s[10:11], v[14:15]
	v_mul_f64 v[48:49], v[12:13], s[34:35]
	v_mul_f64 v[12:13], v[12:13], s[38:39]
	v_add_f64 v[8:9], v[8:9], -v[16:17]
	v_add_f64 v[42:43], v[42:43], v[50:51]
	v_add_f64 v[44:45], v[44:45], v[52:53]
	v_fma_f64 v[50:51], v[14:15], s[36:37], -v[48:49]
	v_fmac_f64_e32 v[48:49], s[36:37], v[14:15]
	v_fma_f64 v[52:53], v[14:15], s[8:9], -v[12:13]
	v_fmac_f64_e32 v[12:13], s[8:9], v[14:15]
	v_add_f64 v[10:11], v[18:19], v[10:11]
	v_mul_f64 v[14:15], v[8:9], s[24:25]
	v_fma_f64 v[16:17], v[10:11], s[26:27], -v[14:15]
	v_fmac_f64_e32 v[14:15], s[26:27], v[10:11]
	v_mul_f64 v[18:19], v[8:9], s[38:39]
	v_add_f64 v[12:13], v[12:13], v[20:21]
	v_add_f64 v[14:15], v[14:15], v[22:23]
	v_fma_f64 v[20:21], v[10:11], s[8:9], -v[18:19]
	v_fmac_f64_e32 v[18:19], s[8:9], v[10:11]
	v_mul_f64 v[22:23], v[8:9], s[30:31]
	v_add_f64 v[16:17], v[16:17], v[24:25]
	v_add_f64 v[18:19], v[18:19], v[26:27]
	;; [unrolled: 5-line block ×4, first 2 shown]
	v_fma_f64 v[32:33], v[10:11], s[12:13], -v[30:31]
	v_fmac_f64_e32 v[30:31], s[12:13], v[10:11]
	v_mul_f64 v[34:35], v[8:9], s[34:35]
	v_add_f64 v[0:1], v[0:1], -v[4:5]
	v_add_f64 v[28:29], v[28:29], v[38:39]
	v_add_f64 v[30:31], v[30:31], v[40:41]
	v_fma_f64 v[38:39], v[10:11], s[36:37], -v[34:35]
	v_fmac_f64_e32 v[34:35], s[36:37], v[10:11]
	v_mul_f64 v[40:41], v[8:9], s[44:45]
	v_mul_f64 v[8:9], v[8:9], s[14:15]
	v_add_f64 v[2:3], v[6:7], v[2:3]
	v_mul_f64 v[4:5], v[0:1], s[34:35]
	v_add_f64 v[32:33], v[32:33], v[42:43]
	v_add_f64 v[34:35], v[34:35], v[44:45]
	v_fma_f64 v[42:43], v[10:11], s[10:11], -v[40:41]
	v_fmac_f64_e32 v[40:41], s[10:11], v[10:11]
	v_fma_f64 v[44:45], v[10:11], s[16:17], -v[8:9]
	v_fmac_f64_e32 v[8:9], s[16:17], v[10:11]
	;; [unrolled: 2-line block ×3, first 2 shown]
	v_mul_f64 v[10:11], v[0:1], s[42:43]
	v_add_f64 v[122:123], v[122:123], v[130:131]
	v_add_f64 v[126:127], v[126:127], v[134:135]
	v_add_f64 v[124:125], v[124:125], v[132:133]
	v_add_f64 v[128:129], v[128:129], v[136:137]
	v_add_f64 v[8:9], v[8:9], v[12:13]
	v_add_f64 v[4:5], v[4:5], v[14:15]
	v_fma_f64 v[12:13], v[2:3], s[12:13], -v[10:11]
	v_fmac_f64_e32 v[10:11], s[12:13], v[2:3]
	v_mul_f64 v[14:15], v[0:1], s[24:25]
	v_add_f64 v[114:115], v[114:115], v[122:123]
	v_add_f64 v[118:119], v[118:119], v[126:127]
	v_add_f64 v[116:117], v[116:117], v[124:125]
	v_add_f64 v[120:121], v[120:121], v[128:129]
	v_add_f64 v[6:7], v[6:7], v[16:17]
	v_add_f64 v[10:11], v[10:11], v[18:19]
	v_fma_f64 v[16:17], v[2:3], s[26:27], -v[14:15]
	v_fmac_f64_e32 v[14:15], s[26:27], v[2:3]
	;; [unrolled: 9-line block ×5, first 2 shown]
	v_mul_f64 v[30:31], v[0:1], s[14:15]
	v_mul_f64 v[0:1], v[0:1], s[40:41]
	v_add_f64 v[38:39], v[38:39], v[46:47]
	v_add_f64 v[42:43], v[42:43], v[50:51]
	;; [unrolled: 1-line block ×6, first 2 shown]
	v_fma_f64 v[32:33], v[2:3], s[16:17], -v[30:31]
	v_fmac_f64_e32 v[30:31], s[16:17], v[2:3]
	v_fma_f64 v[34:35], v[2:3], s[2:3], -v[0:1]
	v_fmac_f64_e32 v[0:1], s[2:3], v[2:3]
	v_lshl_add_u32 v2, v88, 7, v101
	v_add_f64 v[28:29], v[28:29], v[38:39]
	v_add_f64 v[32:33], v[32:33], v[42:43]
	;; [unrolled: 1-line block ×5, first 2 shown]
	ds_write2_b64 v2, v[98:99], v[6:7] offset1:1
	ds_write2_b64 v2, v[12:13], v[16:17] offset0:2 offset1:3
	ds_write2_b64 v2, v[20:21], v[24:25] offset0:4 offset1:5
	ds_write2_b64 v2, v[28:29], v[32:33] offset0:6 offset1:7
	ds_write2_b64 v2, v[34:35], v[0:1] offset0:8 offset1:9
	ds_write2_b64 v2, v[30:31], v[26:27] offset0:10 offset1:11
	ds_write2_b64 v2, v[22:23], v[18:19] offset0:12 offset1:13
	ds_write2_b64 v2, v[14:15], v[10:11] offset0:14 offset1:15
	ds_write_b64 v2, v[4:5] offset:128
.LBB0_15:
	s_or_b64 exec, exec, s[6:7]
	s_movk_i32 s2, 0xf1
	s_waitcnt vmcnt(3)
	v_add_u32_e32 v48, 0x77, v88
	v_mul_lo_u16_sdwa v49, v88, s2 dst_sel:DWORD dst_unused:UNUSED_PAD src0_sel:BYTE_0 src1_sel:DWORD
	v_lshrrev_b16_e32 v112, 12, v49
	v_mul_lo_u16_sdwa v114, v48, s2 dst_sel:DWORD dst_unused:UNUSED_PAD src0_sel:BYTE_0 src1_sel:DWORD
	v_mul_lo_u16_e32 v0, 17, v112
	v_lshrrev_b16_e32 v115, 12, v114
	v_sub_u16_e32 v113, v88, v0
	v_mov_b32_e32 v0, 4
	v_mul_lo_u16_e32 v1, 17, v115
	v_lshlrev_b32_sdwa v8, v0, v113 dst_sel:DWORD dst_unused:UNUSED_PAD src0_sel:DWORD src1_sel:BYTE_0
	v_sub_u16_e32 v116, v48, v1
	s_mov_b32 s2, 0xf0f1
	s_waitcnt lgkmcnt(0)
	s_barrier
	v_lshlrev_b32_sdwa v9, v0, v116 dst_sel:DWORD dst_unused:UNUSED_PAD src0_sel:DWORD src1_sel:BYTE_0
	global_load_dwordx4 v[0:3], v8, s[4:5]
	global_load_dwordx4 v[4:7], v9, s[4:5]
	v_mul_u32_u24_sdwa v8, v111, s2 dst_sel:DWORD dst_unused:UNUSED_PAD src0_sel:WORD_0 src1_sel:DWORD
	v_lshrrev_b32_e32 v117, 20, v8
	v_mul_lo_u16_e32 v8, 17, v117
	v_sub_u16_e32 v111, v111, v8
	v_mul_u32_u24_sdwa v8, v110, s2 dst_sel:DWORD dst_unused:UNUSED_PAD src0_sel:WORD_0 src1_sel:DWORD
	v_lshrrev_b32_e32 v118, 20, v8
	v_mul_lo_u16_e32 v8, 17, v118
	v_lshlrev_b32_e32 v16, 4, v111
	v_sub_u16_e32 v110, v110, v8
	v_lshlrev_b32_e32 v17, 4, v110
	global_load_dwordx4 v[8:11], v16, s[4:5]
	global_load_dwordx4 v[12:15], v17, s[4:5]
	v_mul_u32_u24_sdwa v16, v109, s2 dst_sel:DWORD dst_unused:UNUSED_PAD src0_sel:WORD_0 src1_sel:DWORD
	v_lshrrev_b32_e32 v119, 20, v16
	v_mul_lo_u16_e32 v16, 17, v119
	v_sub_u16_e32 v120, v109, v16
	v_mul_u32_u24_sdwa v16, v108, s2 dst_sel:DWORD dst_unused:UNUSED_PAD src0_sel:WORD_0 src1_sel:DWORD
	v_lshrrev_b32_e32 v121, 20, v16
	v_mul_lo_u16_e32 v16, 17, v121
	v_add_u32_e32 v24, 0x2ca, v88
	v_lshlrev_b32_e32 v25, 4, v120
	v_sub_u16_e32 v122, v108, v16
	v_lshlrev_b32_e32 v26, 4, v122
	global_load_dwordx4 v[16:19], v25, s[4:5]
	global_load_dwordx4 v[20:23], v26, s[4:5]
	v_mul_u32_u24_sdwa v25, v24, s2 dst_sel:DWORD dst_unused:UNUSED_PAD src0_sel:WORD_0 src1_sel:DWORD
	v_lshrrev_b32_e32 v123, 20, v25
	v_mul_lo_u16_e32 v25, 17, v123
	v_sub_u16_e32 v124, v24, v25
	v_lshlrev_b32_e32 v24, 4, v124
	global_load_dwordx4 v[24:27], v24, s[4:5]
	ds_read2_b64 v[28:31], v101 offset1:119
	ds_read2_b64 v[32:35], v102 offset0:74 offset1:193
	ds_read2_b64 v[38:41], v103 offset0:56 offset1:175
	;; [unrolled: 1-line block ×3, first 2 shown]
	ds_read_b64 v[46:47], v89
	s_waitcnt vmcnt(9)
	ds_read_b64 v[54:55], v106
	ds_read_b64 v[56:57], v100
	;; [unrolled: 1-line block ×3, first 2 shown]
	ds_read2_b64 v[50:53], v105 offset0:20 offset1:139
	s_waitcnt lgkmcnt(0)
	s_barrier
	s_mov_b32 s3, 0x5040100
	s_movk_i32 s2, 0x110
	s_mov_b32 s10, 0x37e14327
	s_mov_b32 s12, 0x36b3c0b5
	;; [unrolled: 1-line block ×18, first 2 shown]
	s_waitcnt vmcnt(6)
	v_mul_f64 v[60:61], v[34:35], v[2:3]
	v_mul_f64 v[2:3], v[70:71], v[2:3]
	s_waitcnt vmcnt(5)
	v_mul_f64 v[62:63], v[38:39], v[6:7]
	v_mul_f64 v[6:7], v[76:77], v[6:7]
	v_fmac_f64_e32 v[60:61], v[70:71], v[0:1]
	v_fma_f64 v[0:1], v[34:35], v[0:1], -v[2:3]
	v_fmac_f64_e32 v[62:63], v[76:77], v[4:5]
	v_fma_f64 v[2:3], v[38:39], v[4:5], -v[6:7]
	v_add_f64 v[38:39], v[30:31], -v[2:3]
	v_fma_f64 v[30:31], v[30:31], 2.0, -v[38:39]
	s_waitcnt vmcnt(4)
	v_mul_f64 v[64:65], v[40:41], v[10:11]
	v_mul_f64 v[10:11], v[78:79], v[10:11]
	s_waitcnt vmcnt(3)
	v_mul_f64 v[66:67], v[42:43], v[14:15]
	v_mul_f64 v[14:15], v[80:81], v[14:15]
	v_fmac_f64_e32 v[64:65], v[78:79], v[8:9]
	v_fma_f64 v[4:5], v[40:41], v[8:9], -v[10:11]
	v_fmac_f64_e32 v[66:67], v[80:81], v[12:13]
	v_fma_f64 v[6:7], v[42:43], v[12:13], -v[14:15]
	v_add_f64 v[14:15], v[72:73], -v[60:61]
	v_add_f64 v[40:41], v[46:47], -v[4:5]
	v_fma_f64 v[42:43], v[46:47], 2.0, -v[40:41]
	s_waitcnt vmcnt(2)
	v_mul_f64 v[98:99], v[44:45], v[18:19]
	v_mul_f64 v[18:19], v[82:83], v[18:19]
	s_waitcnt vmcnt(1)
	v_mul_f64 v[106:107], v[50:51], v[22:23]
	v_mul_f64 v[22:23], v[84:85], v[22:23]
	v_fma_f64 v[8:9], v[44:45], v[16:17], -v[18:19]
	v_fma_f64 v[10:11], v[50:51], v[20:21], -v[22:23]
	v_add_f64 v[50:51], v[56:57], -v[8:9]
	s_waitcnt vmcnt(0)
	v_mul_f64 v[108:109], v[52:53], v[26:27]
	v_mul_f64 v[26:27], v[86:87], v[26:27]
	v_fma_f64 v[12:13], v[52:53], v[24:25], -v[26:27]
	v_fma_f64 v[52:53], v[56:57], 2.0, -v[50:51]
	v_add_f64 v[56:57], v[32:33], -v[12:13]
	v_mov_b32_e32 v12, 3
	v_mul_u32_u24_e32 v13, 0x110, v112
	v_lshlrev_b32_sdwa v60, v12, v113 dst_sel:DWORD dst_unused:UNUSED_PAD src0_sel:DWORD src1_sel:BYTE_0
	v_add_f64 v[18:19], v[28:29], -v[0:1]
	v_fma_f64 v[0:1], v[72:73], 2.0, -v[14:15]
	v_add3_u32 v13, 0, v13, v60
	ds_write2_b64 v13, v[0:1], v[14:15] offset1:17
	v_mul_u32_u24_e32 v0, 0x110, v115
	v_lshlrev_b32_sdwa v1, v12, v116 dst_sel:DWORD dst_unused:UNUSED_PAD src0_sel:DWORD src1_sel:BYTE_0
	v_fmac_f64_e32 v[98:99], v[82:83], v[16:17]
	v_add_f64 v[16:17], v[74:75], -v[62:63]
	v_add3_u32 v60, 0, v0, v1
	v_perm_b32 v0, v118, v117, s3
	v_fma_f64 v[2:3], v[74:75], 2.0, -v[16:17]
	v_pk_mul_lo_u16 v0, v0, s2 op_sel_hi:[1,0]
	v_fmac_f64_e32 v[106:107], v[84:85], v[20:21]
	v_add_f64 v[20:21], v[96:97], -v[64:65]
	ds_write2_b64 v60, v[2:3], v[16:17] offset1:17
	v_and_b32_e32 v1, 0xfff0, v0
	v_lshlrev_b32_e32 v2, 3, v111
	v_fma_f64 v[4:5], v[96:97], 2.0, -v[20:21]
	v_add3_u32 v61, 0, v1, v2
	v_lshrrev_b32_e32 v0, 16, v0
	v_lshlrev_b32_e32 v1, 3, v110
	ds_write2_b64 v61, v[4:5], v[20:21] offset1:17
	v_add3_u32 v21, 0, v0, v1
	v_perm_b32 v0, v121, v119, s3
	v_pk_mul_lo_u16 v0, v0, s2 op_sel_hi:[1,0]
	v_lshlrev_b32_e32 v2, 3, v120
	v_and_b32_e32 v1, 0xfff0, v0
	v_fmac_f64_e32 v[108:109], v[86:87], v[24:25]
	v_add_f64 v[44:45], v[54:55], -v[6:7]
	v_add3_u32 v62, 0, v1, v2
	v_lshrrev_b32_e32 v0, 16, v0
	v_lshlrev_b32_e32 v1, 3, v122
	v_fma_f64 v[34:35], v[28:29], 2.0, -v[18:19]
	v_add_f64 v[22:23], v[94:95], -v[66:67]
	v_fma_f64 v[46:47], v[54:55], 2.0, -v[44:45]
	v_add_f64 v[24:25], v[92:93], -v[98:99]
	v_add_f64 v[26:27], v[36:37], -v[106:107]
	;; [unrolled: 1-line block ×4, first 2 shown]
	v_add3_u32 v63, 0, v0, v1
	v_mul_u32_u24_e32 v0, 0x110, v123
	v_lshlrev_b32_e32 v1, 3, v124
	v_fma_f64 v[6:7], v[94:95], 2.0, -v[22:23]
	v_fma_f64 v[8:9], v[92:93], 2.0, -v[24:25]
	;; [unrolled: 1-line block ×5, first 2 shown]
	v_add3_u32 v64, 0, v0, v1
	v_add_u32_e32 v20, 0xb00, v101
	v_fma_f64 v[32:33], v[32:33], 2.0, -v[56:57]
	ds_write2_b64 v21, v[6:7], v[22:23] offset1:17
	ds_write2_b64 v62, v[8:9], v[24:25] offset1:17
	;; [unrolled: 1-line block ×4, first 2 shown]
	s_waitcnt lgkmcnt(0)
	s_barrier
	ds_read2_b64 v[0:3], v101 offset1:119
	ds_read_b64 v[86:87], v89
	ds_read_b64 v[118:119], v100
	ds_read2_b64 v[14:17], v102 offset0:74 offset1:193
	ds_read2_b64 v[22:25], v103 offset0:56 offset1:175
	;; [unrolled: 1-line block ×5, first 2 shown]
	s_waitcnt lgkmcnt(0)
	s_barrier
	ds_write2_b64 v13, v[34:35], v[18:19] offset1:17
	ds_write2_b64 v60, v[30:31], v[38:39] offset1:17
	;; [unrolled: 1-line block ×7, first 2 shown]
	v_lshrrev_b16_e32 v13, 13, v49
	v_mul_lo_u16_e32 v18, 34, v13
	v_sub_u16_e32 v21, v88, v18
	v_mov_b32_e32 v18, 6
	v_mul_u32_u24_sdwa v19, v21, v18 dst_sel:DWORD dst_unused:UNUSED_PAD src0_sel:BYTE_0 src1_sel:DWORD
	v_lshlrev_b32_e32 v19, 4, v19
	s_waitcnt lgkmcnt(0)
	s_barrier
	global_load_dwordx4 v[30:33], v19, s[4:5] offset:272
	global_load_dwordx4 v[34:37], v19, s[4:5] offset:288
	;; [unrolled: 1-line block ×6, first 2 shown]
	v_lshrrev_b16_e32 v49, 13, v114
	v_mul_lo_u16_e32 v19, 34, v49
	v_sub_u16_e32 v122, v48, v19
	v_mul_u32_u24_sdwa v18, v122, v18 dst_sel:DWORD dst_unused:UNUSED_PAD src0_sel:BYTE_0 src1_sel:DWORD
	v_lshlrev_b32_e32 v18, 4, v18
	global_load_dwordx4 v[58:61], v18, s[4:5] offset:272
	global_load_dwordx4 v[62:65], v18, s[4:5] offset:288
	global_load_dwordx4 v[66:69], v18, s[4:5] offset:304
	global_load_dwordx4 v[70:73], v18, s[4:5] offset:320
	global_load_dwordx4 v[74:77], v18, s[4:5] offset:336
	global_load_dwordx4 v[78:81], v18, s[4:5] offset:352
	ds_read2_b64 v[82:85], v101 offset1:119
	ds_read_b64 v[18:19], v89
	ds_read_b64 v[46:47], v100
	ds_read2_b64 v[92:95], v102 offset0:74 offset1:193
	ds_read2_b64 v[96:99], v103 offset0:56 offset1:175
	;; [unrolled: 1-line block ×5, first 2 shown]
	s_mov_b32 s2, 0x429ad128
	s_mov_b32 s3, 0xbfebfeb5
	v_mul_u32_u24_e32 v13, 0x770, v13
	v_lshlrev_b32_sdwa v21, v12, v21 dst_sel:DWORD dst_unused:UNUSED_PAD src0_sel:DWORD src1_sel:BYTE_0
	v_add3_u32 v21, 0, v13, v21
	s_waitcnt lgkmcnt(0)
	s_barrier
	s_waitcnt vmcnt(11)
	v_mul_f64 v[120:121], v[18:19], v[32:33]
	v_mul_f64 v[32:33], v[86:87], v[32:33]
	v_fmac_f64_e32 v[120:121], v[86:87], v[30:31]
	v_fma_f64 v[18:19], v[18:19], v[30:31], -v[32:33]
	s_waitcnt vmcnt(10)
	v_mul_f64 v[30:31], v[46:47], v[36:37]
	v_mul_f64 v[32:33], v[118:119], v[36:37]
	v_fmac_f64_e32 v[30:31], v[118:119], v[34:35]
	v_fma_f64 v[32:33], v[46:47], v[34:35], -v[32:33]
	s_waitcnt vmcnt(9)
	v_mul_f64 v[34:35], v[92:93], v[40:41]
	v_fmac_f64_e32 v[34:35], v[14:15], v[38:39]
	v_mul_f64 v[14:15], v[14:15], v[40:41]
	s_waitcnt vmcnt(8)
	v_mul_f64 v[36:37], v[96:97], v[44:45]
	v_fma_f64 v[14:15], v[92:93], v[38:39], -v[14:15]
	v_fmac_f64_e32 v[36:37], v[22:23], v[42:43]
	v_mul_f64 v[22:23], v[22:23], v[44:45]
	s_waitcnt vmcnt(7)
	v_mul_f64 v[38:39], v[106:107], v[52:53]
	s_waitcnt vmcnt(6)
	v_mul_f64 v[40:41], v[110:111], v[56:57]
	v_fma_f64 v[22:23], v[96:97], v[42:43], -v[22:23]
	v_fmac_f64_e32 v[38:39], v[8:9], v[50:51]
	v_mul_f64 v[8:9], v[8:9], v[52:53]
	v_fmac_f64_e32 v[40:41], v[4:5], v[54:55]
	v_mul_f64 v[4:5], v[4:5], v[56:57]
	s_waitcnt vmcnt(5)
	v_mul_f64 v[42:43], v[114:115], v[60:61]
	v_fma_f64 v[8:9], v[106:107], v[50:51], -v[8:9]
	v_fma_f64 v[4:5], v[110:111], v[54:55], -v[4:5]
	v_fmac_f64_e32 v[42:43], v[26:27], v[58:59]
	v_mul_f64 v[26:27], v[26:27], v[60:61]
	v_fma_f64 v[26:27], v[114:115], v[58:59], -v[26:27]
	s_waitcnt vmcnt(4)
	v_mul_f64 v[44:45], v[116:117], v[64:65]
	s_waitcnt vmcnt(3)
	v_mul_f64 v[46:47], v[94:95], v[68:69]
	;; [unrolled: 2-line block ×3, first 2 shown]
	v_add_f64 v[56:57], v[120:121], v[40:41]
	v_add_f64 v[58:59], v[18:19], v[4:5]
	v_add_f64 v[4:5], v[18:19], -v[4:5]
	v_add_f64 v[18:19], v[30:31], v[38:39]
	v_add_f64 v[60:61], v[32:33], v[8:9]
	v_fmac_f64_e32 v[44:45], v[28:29], v[62:63]
	v_mul_f64 v[28:29], v[28:29], v[64:65]
	v_fmac_f64_e32 v[46:47], v[16:17], v[66:67]
	v_mul_f64 v[16:17], v[16:17], v[68:69]
	;; [unrolled: 2-line block ×3, first 2 shown]
	s_waitcnt vmcnt(1)
	v_mul_f64 v[52:53], v[108:109], v[76:77]
	v_add_f64 v[40:41], v[120:121], -v[40:41]
	v_add_f64 v[30:31], v[30:31], -v[38:39]
	;; [unrolled: 1-line block ×3, first 2 shown]
	v_add_f64 v[32:33], v[34:35], v[36:37]
	v_add_f64 v[38:39], v[14:15], v[22:23]
	v_add_f64 v[34:35], v[36:37], -v[34:35]
	v_add_f64 v[14:15], v[22:23], -v[14:15]
	v_add_f64 v[22:23], v[18:19], v[56:57]
	v_add_f64 v[36:37], v[60:61], v[58:59]
	v_fma_f64 v[28:29], v[116:117], v[62:63], -v[28:29]
	v_fma_f64 v[16:17], v[94:95], v[66:67], -v[16:17]
	;; [unrolled: 1-line block ×3, first 2 shown]
	v_fmac_f64_e32 v[52:53], v[10:11], v[74:75]
	v_mul_f64 v[10:11], v[10:11], v[76:77]
	v_add_f64 v[62:63], v[18:19], -v[56:57]
	v_add_f64 v[64:65], v[60:61], -v[58:59]
	;; [unrolled: 1-line block ×5, first 2 shown]
	v_add_f64 v[66:67], v[34:35], v[30:31]
	v_add_f64 v[68:69], v[14:15], v[8:9]
	v_add_f64 v[70:71], v[34:35], -v[30:31]
	v_add_f64 v[72:73], v[14:15], -v[8:9]
	;; [unrolled: 1-line block ×4, first 2 shown]
	v_add_f64 v[22:23], v[32:33], v[22:23]
	v_add_f64 v[32:33], v[38:39], v[36:37]
	v_fma_f64 v[10:11], v[108:109], v[74:75], -v[10:11]
	s_waitcnt vmcnt(0)
	v_mul_f64 v[54:55], v[112:113], v[80:81]
	v_add_f64 v[60:61], v[38:39], -v[60:61]
	v_add_f64 v[34:35], v[40:41], -v[34:35]
	;; [unrolled: 1-line block ×3, first 2 shown]
	v_add_f64 v[36:37], v[66:67], v[40:41]
	v_add_f64 v[4:5], v[68:69], v[4:5]
	;; [unrolled: 1-line block ×4, first 2 shown]
	v_mul_f64 v[40:41], v[56:57], s[10:11]
	v_mul_f64 v[56:57], v[58:59], s[10:11]
	;; [unrolled: 1-line block ×7, first 2 shown]
	v_fmac_f64_e32 v[54:55], v[6:7], v[78:79]
	v_mul_f64 v[6:7], v[6:7], v[80:81]
	v_mul_f64 v[66:67], v[60:61], s[12:13]
	v_fma_f64 v[22:23], s[18:19], v[22:23], v[0:1]
	v_fma_f64 v[32:33], s[18:19], v[32:33], v[38:39]
	v_fma_f64 v[58:59], v[62:63], s[6:7], -v[58:59]
	v_fma_f64 v[62:63], v[62:63], s[14:15], -v[40:41]
	v_fmac_f64_e32 v[40:41], s[12:13], v[18:19]
	v_fma_f64 v[18:19], v[64:65], s[14:15], -v[56:57]
	v_fmac_f64_e32 v[56:57], s[12:13], v[60:61]
	;; [unrolled: 2-line block ×4, first 2 shown]
	v_fma_f64 v[34:35], v[34:35], s[20:21], -v[72:73]
	v_fma_f64 v[14:15], v[14:15], s[20:21], -v[74:75]
	;; [unrolled: 1-line block ×4, first 2 shown]
	v_add_f64 v[40:41], v[40:41], v[22:23]
	v_add_f64 v[56:57], v[56:57], v[32:33]
	;; [unrolled: 1-line block ×5, first 2 shown]
	v_fmac_f64_e32 v[68:69], s[16:17], v[36:37]
	v_fmac_f64_e32 v[70:71], s[16:17], v[4:5]
	;; [unrolled: 1-line block ×4, first 2 shown]
	v_add_f64 v[60:61], v[66:67], v[32:33]
	v_fmac_f64_e32 v[30:31], s[16:17], v[36:37]
	v_fmac_f64_e32 v[8:9], s[16:17], v[4:5]
	v_add_f64 v[4:5], v[70:71], v[40:41]
	v_add_f64 v[32:33], v[56:57], -v[68:69]
	v_add_f64 v[36:37], v[14:15], v[22:23]
	v_add_f64 v[62:63], v[18:19], -v[34:35]
	v_add_f64 v[14:15], v[22:23], -v[14:15]
	v_add_f64 v[22:23], v[34:35], v[18:19]
	v_add_f64 v[18:19], v[40:41], -v[70:71]
	v_add_f64 v[34:35], v[68:69], v[56:57]
	v_add_f64 v[40:41], v[42:43], v[54:55]
	;; [unrolled: 1-line block ×3, first 2 shown]
	v_add_f64 v[42:43], v[42:43], -v[54:55]
	v_add_f64 v[6:7], v[26:27], -v[6:7]
	v_add_f64 v[26:27], v[44:45], v[52:53]
	v_add_f64 v[54:55], v[28:29], v[10:11]
	v_add_f64 v[44:45], v[44:45], -v[52:53]
	v_add_f64 v[10:11], v[28:29], -v[10:11]
	v_add_f64 v[28:29], v[46:47], v[50:51]
	v_add_f64 v[52:53], v[16:17], v[24:25]
	v_add_f64 v[46:47], v[50:51], -v[46:47]
	v_add_f64 v[16:17], v[24:25], -v[16:17]
	v_add_f64 v[24:25], v[26:27], v[40:41]
	v_add_f64 v[50:51], v[54:55], v[56:57]
	v_add_f64 v[64:65], v[58:59], -v[8:9]
	v_add_f64 v[66:67], v[30:31], v[60:61]
	v_add_f64 v[8:9], v[8:9], v[58:59]
	v_add_f64 v[30:31], v[60:61], -v[30:31]
	v_add_f64 v[58:59], v[26:27], -v[40:41]
	;; [unrolled: 1-line block ×6, first 2 shown]
	v_add_f64 v[68:69], v[46:47], v[44:45]
	v_add_f64 v[70:71], v[16:17], v[10:11]
	v_add_f64 v[72:73], v[46:47], -v[44:45]
	v_add_f64 v[74:75], v[16:17], -v[10:11]
	;; [unrolled: 1-line block ×4, first 2 shown]
	v_add_f64 v[24:25], v[28:29], v[24:25]
	v_add_f64 v[28:29], v[52:53], v[50:51]
	v_add_f64 v[54:55], v[52:53], -v[54:55]
	v_add_f64 v[46:47], v[42:43], -v[46:47]
	v_add_f64 v[16:17], v[6:7], -v[16:17]
	v_add_f64 v[6:7], v[70:71], v[6:7]
	v_add_f64 v[2:3], v[2:3], v[24:25]
	;; [unrolled: 1-line block ×3, first 2 shown]
	v_mul_f64 v[40:41], v[40:41], s[10:11]
	v_mul_f64 v[52:53], v[56:57], s[10:11]
	;; [unrolled: 1-line block ×7, first 2 shown]
	v_add_f64 v[42:43], v[68:69], v[42:43]
	v_mul_f64 v[68:69], v[54:55], s[12:13]
	v_fma_f64 v[24:25], s[18:19], v[24:25], v[2:3]
	v_fma_f64 v[28:29], s[18:19], v[28:29], v[50:51]
	v_fma_f64 v[56:57], v[58:59], s[6:7], -v[56:57]
	v_fma_f64 v[58:59], v[58:59], s[14:15], -v[40:41]
	v_fmac_f64_e32 v[40:41], s[12:13], v[26:27]
	v_fma_f64 v[26:27], v[60:61], s[14:15], -v[52:53]
	v_fma_f64 v[44:45], v[44:45], s[2:3], -v[70:71]
	v_fmac_f64_e32 v[70:71], s[22:23], v[46:47]
	v_fma_f64 v[10:11], v[10:11], s[2:3], -v[72:73]
	v_fmac_f64_e32 v[72:73], s[22:23], v[16:17]
	v_fma_f64 v[46:47], v[46:47], s[20:21], -v[74:75]
	v_fma_f64 v[16:17], v[16:17], s[20:21], -v[76:77]
	;; [unrolled: 1-line block ×3, first 2 shown]
	v_fmac_f64_e32 v[52:53], s[12:13], v[54:55]
	v_add_f64 v[40:41], v[40:41], v[24:25]
	v_add_f64 v[54:55], v[56:57], v[24:25]
	;; [unrolled: 1-line block ×4, first 2 shown]
	v_fmac_f64_e32 v[72:73], s[16:17], v[6:7]
	v_fmac_f64_e32 v[10:11], s[16:17], v[6:7]
	;; [unrolled: 1-line block ×4, first 2 shown]
	ds_write2_b64 v21, v[0:1], v[4:5] offset1:34
	ds_write2_b64 v21, v[36:37], v[64:65] offset0:68 offset1:102
	ds_write2_b64 v21, v[8:9], v[14:15] offset0:136 offset1:170
	ds_write_b64 v21, v[18:19] offset:1632
	v_mul_u32_u24_e32 v0, 0x770, v49
	v_lshlrev_b32_sdwa v1, v12, v122 dst_sel:DWORD dst_unused:UNUSED_PAD src0_sel:DWORD src1_sel:BYTE_0
	v_add_f64 v[52:53], v[52:53], v[28:29]
	v_add_f64 v[56:57], v[68:69], v[28:29]
	v_fmac_f64_e32 v[44:45], s[16:17], v[42:43]
	v_add_f64 v[6:7], v[72:73], v[40:41]
	v_add_f64 v[28:29], v[16:17], v[24:25]
	v_add_f64 v[58:59], v[26:27], -v[46:47]
	v_add_f64 v[60:61], v[54:55], -v[10:11]
	v_add_f64 v[10:11], v[10:11], v[54:55]
	v_add_f64 v[16:17], v[24:25], -v[16:17]
	v_add_f64 v[24:25], v[46:47], v[26:27]
	v_add_f64 v[26:27], v[40:41], -v[72:73]
	v_add3_u32 v36, 0, v0, v1
	v_add_f64 v[68:69], v[44:45], v[56:57]
	v_add_f64 v[54:55], v[56:57], -v[44:45]
	ds_write2_b64 v36, v[2:3], v[6:7] offset1:34
	ds_write2_b64 v36, v[28:29], v[60:61] offset0:68 offset1:102
	ds_write2_b64 v36, v[10:11], v[16:17] offset0:136 offset1:170
	ds_write_b64 v36, v[26:27] offset:1632
	s_waitcnt lgkmcnt(0)
	s_barrier
	ds_read2_b64 v[0:3], v101 offset1:119
	ds_read_b64 v[44:45], v89
	ds_read_b64 v[46:47], v100
	ds_read2_b64 v[16:19], v102 offset0:74 offset1:193
	ds_read2_b64 v[12:15], v103 offset0:56 offset1:175
	;; [unrolled: 1-line block ×5, first 2 shown]
	v_fmac_f64_e32 v[70:71], s[16:17], v[42:43]
	v_add_f64 v[42:43], v[52:53], -v[70:71]
	v_add_f64 v[40:41], v[70:71], v[52:53]
	s_waitcnt lgkmcnt(0)
	s_barrier
	ds_write2_b64 v21, v[38:39], v[32:33] offset1:34
	ds_write2_b64 v21, v[62:63], v[66:67] offset0:68 offset1:102
	ds_write2_b64 v21, v[30:31], v[22:23] offset0:136 offset1:170
	ds_write_b64 v21, v[34:35] offset:1632
	ds_write2_b64 v36, v[50:51], v[42:43] offset1:34
	ds_write2_b64 v36, v[58:59], v[68:69] offset0:68 offset1:102
	ds_write2_b64 v36, v[54:55], v[24:25] offset0:136 offset1:170
	ds_write_b64 v36, v[40:41] offset:1632
	s_waitcnt lgkmcnt(0)
	s_barrier
	s_and_saveexec_b64 s[24:25], s[0:1]
	s_cbranch_execz .LBB0_17
; %bb.16:
	v_mul_u32_u24_e32 v21, 6, v48
	v_lshlrev_b32_e32 v21, 4, v21
	global_load_dwordx4 v[30:33], v21, s[4:5] offset:3584
	global_load_dwordx4 v[34:37], v21, s[4:5] offset:3568
	;; [unrolled: 1-line block ×6, first 2 shown]
	v_add_u32_e32 v21, 0x1c00, v101
	ds_read2_b64 v[62:65], v20 offset0:5 offset1:243
	v_add_u32_e32 v20, 0x2400, v101
	v_mul_u32_u24_e32 v49, 6, v88
	v_add_u32_e32 v42, 0x1400, v101
	v_add_u32_e32 v43, 0x2c00, v101
	ds_read2_b64 v[22:25], v101 offset1:119
	ds_read2_b64 v[66:69], v21 offset0:56 offset1:175
	ds_read2_b64 v[70:73], v42 offset0:74 offset1:193
	;; [unrolled: 1-line block ×4, first 2 shown]
	v_lshlrev_b32_e32 v20, 4, v49
	global_load_dwordx4 v[82:85], v20, s[4:5] offset:3584
	global_load_dwordx4 v[92:95], v20, s[4:5] offset:3568
	;; [unrolled: 1-line block ×6, first 2 shown]
	s_movk_i32 s0, 0x1000
	s_movk_i32 s4, 0x4000
	s_waitcnt vmcnt(11)
	v_mul_f64 v[20:21], v[14:15], v[30:31]
	s_waitcnt vmcnt(10)
	v_mul_f64 v[42:43], v[18:19], v[34:35]
	;; [unrolled: 2-line block ×6, first 2 shown]
	v_mul_f64 v[18:19], v[18:19], v[36:37]
	v_mul_f64 v[14:15], v[14:15], v[32:33]
	;; [unrolled: 1-line block ×6, first 2 shown]
	s_waitcnt lgkmcnt(3)
	v_fmac_f64_e32 v[20:21], v[68:69], v[32:33]
	s_waitcnt lgkmcnt(2)
	v_fmac_f64_e32 v[42:43], v[72:73], v[36:37]
	v_fmac_f64_e32 v[86:87], v[64:65], v[40:41]
	s_waitcnt lgkmcnt(1)
	v_fmac_f64_e32 v[114:115], v[76:77], v[52:53]
	;; [unrolled: 3-line block ×3, first 2 shown]
	v_fma_f64 v[18:19], v[72:73], v[34:35], -v[18:19]
	v_fma_f64 v[14:15], v[68:69], v[30:31], -v[14:15]
	;; [unrolled: 1-line block ×6, first 2 shown]
	v_add_f64 v[30:31], v[20:21], -v[42:43]
	v_add_f64 v[32:33], v[86:87], -v[114:115]
	v_add_f64 v[36:37], v[14:15], v[18:19]
	v_add_f64 v[38:39], v[28:29], v[10:11]
	;; [unrolled: 1-line block ×6, first 2 shown]
	v_add_f64 v[34:35], v[116:117], -v[118:119]
	v_add_f64 v[14:15], v[14:15], -v[18:19]
	v_add_f64 v[18:19], v[30:31], v[32:33]
	v_add_f64 v[54:55], v[40:41], -v[36:37]
	v_add_f64 v[56:57], v[38:39], v[40:41]
	v_add_f64 v[62:63], v[42:43], v[50:51]
	v_add_f64 v[10:11], v[28:29], -v[10:11]
	v_add_f64 v[28:29], v[30:31], -v[32:33]
	;; [unrolled: 1-line block ×6, first 2 shown]
	v_add_f64 v[68:69], v[18:19], v[34:35]
	v_mul_f64 v[54:55], v[54:55], s[10:11]
	v_add_f64 v[18:19], v[36:37], v[56:57]
	v_add_f64 v[20:21], v[20:21], v[62:63]
	v_mul_f64 v[72:73], v[28:29], s[8:9]
	v_mul_f64 v[76:77], v[30:31], s[12:13]
	;; [unrolled: 1-line block ×3, first 2 shown]
	v_fma_f64 v[62:63], s[12:13], v[30:31], v[54:55]
	v_add_f64 v[30:31], v[24:25], v[18:19]
	v_add_f64 v[28:29], v[2:3], v[20:21]
	;; [unrolled: 1-line block ×3, first 2 shown]
	v_mul_f64 v[36:37], v[58:59], s[12:13]
	v_fma_f64 v[24:25], s[12:13], v[58:59], v[56:57]
	v_mov_b64_e32 v[2:3], v[30:31]
	v_mov_b64_e32 v[58:59], v[28:29]
	v_add_f64 v[6:7], v[26:27], -v[6:7]
	v_fmac_f64_e32 v[2:3], s[18:19], v[18:19]
	v_fmac_f64_e32 v[58:59], s[18:19], v[20:21]
	v_add_f64 v[64:65], v[64:65], v[6:7]
	v_add_f64 v[18:19], v[14:15], -v[10:11]
	v_add_f64 v[14:15], v[6:7], -v[14:15]
	;; [unrolled: 1-line block ×4, first 2 shown]
	v_add_f64 v[80:81], v[24:25], v[58:59]
	v_mul_f64 v[86:87], v[18:19], s[8:9]
	v_mul_f64 v[24:25], v[32:33], s[2:3]
	v_add_f64 v[34:35], v[38:39], -v[40:41]
	v_mul_f64 v[10:11], v[6:7], s[2:3]
	v_fma_f64 v[60:61], s[22:23], v[52:53], v[72:73]
	v_fma_f64 v[114:115], s[22:23], v[14:15], v[86:87]
	v_fma_f64 v[52:53], v[52:53], s[20:21], -v[24:25]
	v_fma_f64 v[24:25], v[34:35], s[14:15], -v[54:55]
	;; [unrolled: 1-line block ×4, first 2 shown]
	v_add_f64 v[62:63], v[62:63], v[2:3]
	v_add_f64 v[40:41], v[24:25], v[2:3]
	;; [unrolled: 1-line block ×3, first 2 shown]
	v_fma_f64 v[14:15], v[32:33], s[2:3], -v[72:73]
	v_add_f64 v[38:39], v[42:43], -v[50:51]
	v_fmac_f64_e32 v[14:15], s[16:17], v[68:69]
	v_fma_f64 v[24:25], v[38:39], s[14:15], -v[56:57]
	v_add_f64 v[34:35], v[2:3], -v[14:15]
	v_fma_f64 v[32:33], v[38:39], s[6:7], -v[36:37]
	v_add_f64 v[38:39], v[14:15], v[2:3]
	ds_read_b64 v[2:3], v100
	ds_read_b64 v[56:57], v89
	v_fmac_f64_e32 v[52:53], s[16:17], v[68:69]
	v_add_f64 v[50:51], v[24:25], v[58:59]
	v_fmac_f64_e32 v[10:11], s[16:17], v[64:65]
	v_fma_f64 v[6:7], v[6:7], s[2:3], -v[86:87]
	v_fmac_f64_e32 v[60:61], s[16:17], v[68:69]
	v_fmac_f64_e32 v[114:115], s[16:17], v[64:65]
	v_add_f64 v[26:27], v[52:53], v[40:41]
	v_add_f64 v[24:25], v[50:51], -v[10:11]
	v_fmac_f64_e32 v[6:7], s[16:17], v[64:65]
	v_add_f64 v[36:37], v[32:33], v[58:59]
	v_add_f64 v[42:43], v[40:41], -v[52:53]
	v_add_f64 v[40:41], v[10:11], v[50:51]
	s_waitcnt vmcnt(5)
	v_mul_f64 v[10:11], v[12:13], v[82:83]
	s_waitcnt vmcnt(4)
	v_mul_f64 v[14:15], v[16:17], v[92:93]
	;; [unrolled: 2-line block ×4, first 2 shown]
	v_mul_f64 v[64:65], v[44:45], v[102:103]
	v_mul_f64 v[68:69], v[4:5], v[106:107]
	v_fmac_f64_e32 v[10:11], v[66:67], v[84:85]
	v_fmac_f64_e32 v[14:15], v[70:71], v[94:95]
	s_waitcnt lgkmcnt(1)
	v_fmac_f64_e32 v[54:55], v[2:3], v[98:99]
	v_fmac_f64_e32 v[58:59], v[74:75], v[112:113]
	s_waitcnt lgkmcnt(0)
	v_fmac_f64_e32 v[64:65], v[56:57], v[104:105]
	v_fmac_f64_e32 v[68:69], v[78:79], v[108:109]
	v_add_f64 v[20:21], v[60:61], v[62:63]
	v_add_f64 v[32:33], v[6:7], v[36:37]
	v_add_f64 v[36:37], v[36:37], -v[6:7]
	v_add_f64 v[52:53], v[62:63], -v[60:61]
	;; [unrolled: 1-line block ×6, first 2 shown]
	v_add_f64 v[50:51], v[114:115], v[80:81]
	v_add_f64 v[62:63], v[6:7], v[60:61]
	v_add_f64 v[76:77], v[6:7], -v[60:61]
	v_add_f64 v[80:81], v[72:73], -v[6:7]
	v_mul_f64 v[6:7], v[16:17], v[94:95]
	v_fma_f64 v[16:17], v[70:71], v[92:93], -v[6:7]
	v_mul_f64 v[6:7], v[12:13], v[84:85]
	v_add_f64 v[10:11], v[10:11], v[14:15]
	v_add_f64 v[14:15], v[54:55], v[58:59]
	;; [unrolled: 1-line block ×3, first 2 shown]
	v_fma_f64 v[12:13], v[66:67], v[82:83], -v[6:7]
	v_add_f64 v[82:83], v[14:15], v[64:65]
	v_mul_f64 v[46:47], v[46:47], v[98:99]
	v_mul_f64 v[44:45], v[44:45], v[104:105]
	;; [unrolled: 1-line block ×3, first 2 shown]
	v_add_f64 v[54:55], v[10:11], -v[14:15]
	v_add_f64 v[68:69], v[64:65], -v[10:11]
	v_add_f64 v[10:11], v[10:11], v[82:83]
	v_fma_f64 v[46:47], v[2:3], v[96:97], -v[46:47]
	v_mul_f64 v[2:3], v[8:9], v[112:113]
	v_fma_f64 v[44:45], v[56:57], v[102:103], -v[44:45]
	v_fma_f64 v[4:5], v[78:79], v[106:107], -v[4:5]
	v_add_f64 v[0:1], v[0:1], v[10:11]
	v_add_f64 v[6:7], v[12:13], v[16:17]
	v_fma_f64 v[8:9], v[74:75], v[110:111], -v[2:3]
	v_add_f64 v[56:57], v[44:45], v[4:5]
	v_mov_b64_e32 v[82:83], v[0:1]
	v_add_f64 v[66:67], v[46:47], v[8:9]
	v_add_f64 v[74:75], v[56:57], -v[6:7]
	v_fmac_f64_e32 v[82:83], s[18:19], v[10:11]
	v_add_f64 v[10:11], v[12:13], -v[16:17]
	v_add_f64 v[8:9], v[46:47], -v[8:9]
	;; [unrolled: 1-line block ×3, first 2 shown]
	v_mul_f64 v[74:75], v[74:75], s[10:11]
	v_add_f64 v[12:13], v[10:11], v[8:9]
	v_add_f64 v[16:17], v[44:45], -v[4:5]
	v_mul_f64 v[70:71], v[2:3], s[12:13]
	v_fma_f64 v[78:79], s[12:13], v[2:3], v[74:75]
	v_add_f64 v[2:3], v[66:67], v[56:57]
	v_mul_f64 v[68:69], v[68:69], s[10:11]
	v_add_f64 v[12:13], v[12:13], v[16:17]
	v_add_f64 v[4:5], v[10:11], -v[8:9]
	v_add_f64 v[46:47], v[16:17], -v[10:11]
	v_add_f64 v[16:17], v[8:9], -v[16:17]
	v_add_f64 v[6:7], v[6:7], v[2:3]
	v_mul_f64 v[58:59], v[54:55], s[12:13]
	v_fma_f64 v[54:55], s[12:13], v[54:55], v[68:69]
	v_mul_f64 v[44:45], v[4:5], s[8:9]
	v_mul_f64 v[8:9], v[16:17], s[2:3]
	v_add_f64 v[62:63], v[62:63], v[72:73]
	v_add_f64 v[2:3], v[22:23], v[6:7]
	;; [unrolled: 1-line block ×3, first 2 shown]
	v_fma_f64 v[92:93], s[22:23], v[46:47], v[44:45]
	v_add_f64 v[54:55], v[60:61], -v[72:73]
	v_add_f64 v[64:65], v[14:15], -v[64:65]
	v_fma_f64 v[72:73], v[46:47], s[20:21], -v[8:9]
	v_fma_f64 v[16:17], v[16:17], s[2:3], -v[44:45]
	v_mul_f64 v[76:77], v[76:77], s[8:9]
	v_mov_b64_e32 v[22:23], v[2:3]
	v_fmac_f64_e32 v[92:93], s[16:17], v[12:13]
	v_mul_f64 v[10:11], v[54:55], s[2:3]
	v_add_f64 v[56:57], v[66:67], -v[56:57]
	v_fmac_f64_e32 v[72:73], s[16:17], v[12:13]
	v_fmac_f64_e32 v[16:17], s[16:17], v[12:13]
	v_fma_f64 v[12:13], v[64:65], s[6:7], -v[58:59]
	v_fma_f64 v[86:87], s[22:23], v[80:81], v[76:77]
	v_fmac_f64_e32 v[22:23], s[18:19], v[6:7]
	v_fma_f64 v[60:61], v[80:81], s[20:21], -v[10:11]
	v_fma_f64 v[10:11], v[56:57], s[14:15], -v[74:75]
	v_add_f64 v[44:45], v[12:13], v[82:83]
	v_mov_b32_e32 v89, 0
	v_fmac_f64_e32 v[86:87], s[16:17], v[62:63]
	v_add_f64 v[78:79], v[78:79], v[22:23]
	v_fmac_f64_e32 v[60:61], s[16:17], v[62:63]
	v_add_f64 v[66:67], v[10:11], v[22:23]
	v_fma_f64 v[14:15], v[64:65], s[14:15], -v[68:69]
	v_add_f64 v[12:13], v[16:17], v[44:45]
	v_add_f64 v[44:45], v[44:45], -v[16:17]
	v_lshl_add_u64 v[16:17], v[88:89], 4, v[90:91]
	v_add_f64 v[10:11], v[60:61], v[66:67]
	v_add_f64 v[68:69], v[14:15], v[82:83]
	v_fma_f64 v[14:15], v[56:57], s[6:7], -v[70:71]
	v_add_f64 v[56:57], v[66:67], -v[60:61]
	v_add_f64 v[60:61], v[78:79], -v[86:87]
	v_add_f64 v[58:59], v[92:93], v[84:85]
	global_store_dwordx4 v[16:17], v[0:3], off
	global_store_dwordx4 v[16:17], v[58:61], off offset:3808
	v_fma_f64 v[46:47], v[54:55], s[2:3], -v[76:77]
	v_add_co_u32_e32 v0, vcc, s0, v16
	v_add_f64 v[54:55], v[72:73], v[68:69]
	s_nop 0
	v_addc_co_u32_e32 v1, vcc, 0, v17, vcc
	s_movk_i32 s2, 0x2000
	v_add_f64 v[22:23], v[14:15], v[22:23]
	v_fmac_f64_e32 v[46:47], s[16:17], v[62:63]
	global_store_dwordx4 v[0:1], v[54:57], off offset:3520
	v_add_co_u32_e32 v0, vcc, s2, v16
	v_add_f64 v[14:15], v[22:23], -v[46:47]
	v_add_f64 v[46:47], v[46:47], v[22:23]
	v_addc_co_u32_e32 v1, vcc, 0, v17, vcc
	s_movk_i32 s3, 0x3000
	global_store_dwordx4 v[0:1], v[44:47], off offset:3232
	v_add_co_u32_e32 v0, vcc, s3, v16
	v_add_f64 v[8:9], v[68:69], -v[72:73]
	s_nop 0
	v_addc_co_u32_e32 v1, vcc, 0, v17, vcc
	global_store_dwordx4 v[0:1], v[12:15], off offset:2944
	v_add_co_u32_e32 v0, vcc, s4, v16
	s_movk_i32 s0, 0x5000
	s_nop 0
	v_addc_co_u32_e32 v1, vcc, 0, v17, vcc
	global_store_dwordx4 v[0:1], v[8:11], off offset:2656
	v_add_co_u32_e32 v0, vcc, s0, v16
	v_add_f64 v[6:7], v[86:87], v[78:79]
	v_add_f64 v[4:5], v[84:85], -v[92:93]
	v_addc_co_u32_e32 v1, vcc, 0, v17, vcc
	s_mov_b32 s0, 0x44d72045
	global_store_dwordx4 v[0:1], v[4:7], off offset:2368
	v_mul_hi_u32 v0, v48, s0
	v_lshrrev_b32_e32 v0, 6, v0
	v_mul_u32_u24_e32 v88, 0x594, v0
	v_lshl_add_u64 v[0:1], v[88:89], 4, v[16:17]
	s_mov_b64 s[0:1], 0x770
	v_lshl_add_u64 v[2:3], v[0:1], 0, s[0:1]
	global_store_dwordx4 v[0:1], v[28:31], off offset:1904
	global_store_dwordx4 v[2:3], v[50:53], off offset:3808
	v_add_co_u32_e32 v2, vcc, s2, v0
	s_nop 1
	v_addc_co_u32_e32 v3, vcc, 0, v1, vcc
	global_store_dwordx4 v[2:3], v[40:43], off offset:1328
	v_add_co_u32_e32 v2, vcc, s3, v0
	s_nop 1
	v_addc_co_u32_e32 v3, vcc, 0, v1, vcc
	;; [unrolled: 4-line block ×4, first 2 shown]
	v_add_co_u32_e32 v0, vcc, 0x6000, v0
	global_store_dwordx4 v[2:3], v[24:27], off offset:464
	s_nop 0
	v_addc_co_u32_e32 v1, vcc, 0, v1, vcc
	global_store_dwordx4 v[0:1], v[18:21], off offset:176
.LBB0_17:
	s_endpgm
	.section	.rodata,"a",@progbits
	.p2align	6, 0x0
	.amdhsa_kernel fft_rtc_back_len1666_factors_17_2_7_7_wgs_119_tpt_119_halfLds_dp_ip_CI_unitstride_sbrr_dirReg
		.amdhsa_group_segment_fixed_size 0
		.amdhsa_private_segment_fixed_size 0
		.amdhsa_kernarg_size 88
		.amdhsa_user_sgpr_count 2
		.amdhsa_user_sgpr_dispatch_ptr 0
		.amdhsa_user_sgpr_queue_ptr 0
		.amdhsa_user_sgpr_kernarg_segment_ptr 1
		.amdhsa_user_sgpr_dispatch_id 0
		.amdhsa_user_sgpr_kernarg_preload_length 0
		.amdhsa_user_sgpr_kernarg_preload_offset 0
		.amdhsa_user_sgpr_private_segment_size 0
		.amdhsa_uses_dynamic_stack 0
		.amdhsa_enable_private_segment 0
		.amdhsa_system_sgpr_workgroup_id_x 1
		.amdhsa_system_sgpr_workgroup_id_y 0
		.amdhsa_system_sgpr_workgroup_id_z 0
		.amdhsa_system_sgpr_workgroup_info 0
		.amdhsa_system_vgpr_workitem_id 0
		.amdhsa_next_free_vgpr 148
		.amdhsa_next_free_sgpr 58
		.amdhsa_accum_offset 148
		.amdhsa_reserve_vcc 1
		.amdhsa_float_round_mode_32 0
		.amdhsa_float_round_mode_16_64 0
		.amdhsa_float_denorm_mode_32 3
		.amdhsa_float_denorm_mode_16_64 3
		.amdhsa_dx10_clamp 1
		.amdhsa_ieee_mode 1
		.amdhsa_fp16_overflow 0
		.amdhsa_tg_split 0
		.amdhsa_exception_fp_ieee_invalid_op 0
		.amdhsa_exception_fp_denorm_src 0
		.amdhsa_exception_fp_ieee_div_zero 0
		.amdhsa_exception_fp_ieee_overflow 0
		.amdhsa_exception_fp_ieee_underflow 0
		.amdhsa_exception_fp_ieee_inexact 0
		.amdhsa_exception_int_div_zero 0
	.end_amdhsa_kernel
	.text
.Lfunc_end0:
	.size	fft_rtc_back_len1666_factors_17_2_7_7_wgs_119_tpt_119_halfLds_dp_ip_CI_unitstride_sbrr_dirReg, .Lfunc_end0-fft_rtc_back_len1666_factors_17_2_7_7_wgs_119_tpt_119_halfLds_dp_ip_CI_unitstride_sbrr_dirReg
                                        ; -- End function
	.section	.AMDGPU.csdata,"",@progbits
; Kernel info:
; codeLenInByte = 13324
; NumSgprs: 64
; NumVgprs: 148
; NumAgprs: 0
; TotalNumVgprs: 148
; ScratchSize: 0
; MemoryBound: 1
; FloatMode: 240
; IeeeMode: 1
; LDSByteSize: 0 bytes/workgroup (compile time only)
; SGPRBlocks: 7
; VGPRBlocks: 18
; NumSGPRsForWavesPerEU: 64
; NumVGPRsForWavesPerEU: 148
; AccumOffset: 148
; Occupancy: 3
; WaveLimiterHint : 1
; COMPUTE_PGM_RSRC2:SCRATCH_EN: 0
; COMPUTE_PGM_RSRC2:USER_SGPR: 2
; COMPUTE_PGM_RSRC2:TRAP_HANDLER: 0
; COMPUTE_PGM_RSRC2:TGID_X_EN: 1
; COMPUTE_PGM_RSRC2:TGID_Y_EN: 0
; COMPUTE_PGM_RSRC2:TGID_Z_EN: 0
; COMPUTE_PGM_RSRC2:TIDIG_COMP_CNT: 0
; COMPUTE_PGM_RSRC3_GFX90A:ACCUM_OFFSET: 36
; COMPUTE_PGM_RSRC3_GFX90A:TG_SPLIT: 0
	.text
	.p2alignl 6, 3212836864
	.fill 256, 4, 3212836864
	.type	__hip_cuid_47bd71bb691a63c5,@object ; @__hip_cuid_47bd71bb691a63c5
	.section	.bss,"aw",@nobits
	.globl	__hip_cuid_47bd71bb691a63c5
__hip_cuid_47bd71bb691a63c5:
	.byte	0                               ; 0x0
	.size	__hip_cuid_47bd71bb691a63c5, 1

	.ident	"AMD clang version 19.0.0git (https://github.com/RadeonOpenCompute/llvm-project roc-6.4.0 25133 c7fe45cf4b819c5991fe208aaa96edf142730f1d)"
	.section	".note.GNU-stack","",@progbits
	.addrsig
	.addrsig_sym __hip_cuid_47bd71bb691a63c5
	.amdgpu_metadata
---
amdhsa.kernels:
  - .agpr_count:     0
    .args:
      - .actual_access:  read_only
        .address_space:  global
        .offset:         0
        .size:           8
        .value_kind:     global_buffer
      - .offset:         8
        .size:           8
        .value_kind:     by_value
      - .actual_access:  read_only
        .address_space:  global
        .offset:         16
        .size:           8
        .value_kind:     global_buffer
      - .actual_access:  read_only
        .address_space:  global
        .offset:         24
        .size:           8
        .value_kind:     global_buffer
      - .offset:         32
        .size:           8
        .value_kind:     by_value
      - .actual_access:  read_only
        .address_space:  global
        .offset:         40
        .size:           8
        .value_kind:     global_buffer
      - .actual_access:  read_only
        .address_space:  global
        .offset:         48
        .size:           8
        .value_kind:     global_buffer
      - .offset:         56
        .size:           4
        .value_kind:     by_value
      - .actual_access:  read_only
        .address_space:  global
        .offset:         64
        .size:           8
        .value_kind:     global_buffer
      - .actual_access:  read_only
        .address_space:  global
        .offset:         72
        .size:           8
        .value_kind:     global_buffer
      - .address_space:  global
        .offset:         80
        .size:           8
        .value_kind:     global_buffer
    .group_segment_fixed_size: 0
    .kernarg_segment_align: 8
    .kernarg_segment_size: 88
    .language:       OpenCL C
    .language_version:
      - 2
      - 0
    .max_flat_workgroup_size: 119
    .name:           fft_rtc_back_len1666_factors_17_2_7_7_wgs_119_tpt_119_halfLds_dp_ip_CI_unitstride_sbrr_dirReg
    .private_segment_fixed_size: 0
    .sgpr_count:     64
    .sgpr_spill_count: 0
    .symbol:         fft_rtc_back_len1666_factors_17_2_7_7_wgs_119_tpt_119_halfLds_dp_ip_CI_unitstride_sbrr_dirReg.kd
    .uniform_work_group_size: 1
    .uses_dynamic_stack: false
    .vgpr_count:     148
    .vgpr_spill_count: 0
    .wavefront_size: 64
amdhsa.target:   amdgcn-amd-amdhsa--gfx950
amdhsa.version:
  - 1
  - 2
...

	.end_amdgpu_metadata
